;; amdgpu-corpus repo=LLNL/RAJAPerf kind=compiled arch=gfx1250 opt=O3
	.amdgcn_target "amdgcn-amd-amdhsa--gfx1250"
	.amdhsa_code_object_version 6
	.section	.text._ZN8rajaperf9polybench9poly_adi1ILm256EEEvldddddPdS2_S2_S2_,"axG",@progbits,_ZN8rajaperf9polybench9poly_adi1ILm256EEEvldddddPdS2_S2_S2_,comdat
	.protected	_ZN8rajaperf9polybench9poly_adi1ILm256EEEvldddddPdS2_S2_S2_ ; -- Begin function _ZN8rajaperf9polybench9poly_adi1ILm256EEEvldddddPdS2_S2_S2_
	.globl	_ZN8rajaperf9polybench9poly_adi1ILm256EEEvldddddPdS2_S2_S2_
	.p2align	8
	.type	_ZN8rajaperf9polybench9poly_adi1ILm256EEEvldddddPdS2_S2_S2_,@function
_ZN8rajaperf9polybench9poly_adi1ILm256EEEvldddddPdS2_S2_S2_: ; @_ZN8rajaperf9polybench9poly_adi1ILm256EEEvldddddPdS2_S2_S2_
; %bb.0:
	s_load_b512 s[4:19], s[0:1], 0x0
	s_bfe_u32 s2, ttmp6, 0x4000c
	v_dual_mov_b32 v1, 0 :: v_dual_add_nc_u32 v2, 1, v0
	s_add_co_i32 s2, s2, 1
	s_and_b32 s3, ttmp6, 15
	s_mul_i32 s2, ttmp9, s2
	s_getreg_b32 s20, hwreg(HW_REG_IB_STS2, 6, 4)
	s_add_co_i32 s3, s3, s2
	s_cmp_eq_u32 s20, 0
	v_mov_b32_e32 v3, v1
	s_mov_b32 s27, 0
	s_cselect_b32 s26, ttmp9, s3
	s_mov_b32 s20, exec_lo
	s_lshl_b64 s[24:25], s[26:27], 8
	s_delay_alu instid0(SALU_CYCLE_1)
	v_add_nc_u64_e32 v[2:3], s[24:25], v[2:3]
	s_wait_kmcnt 0x0
	s_add_nc_u64 s[2:3], s[4:5], -1
	s_delay_alu instid0(VALU_DEP_1) | instid1(SALU_CYCLE_1)
	v_cmpx_gt_i64_e64 s[2:3], v[2:3]
	s_cbranch_execz .LBB0_14
; %bb.1:
	v_mul_u64_e32 v[2:3], s[4:5], v[2:3]
	s_load_b128 s[20:23], s[0:1], 0x40
	v_mov_b64_e32 v[4:5], 1.0
	v_mov_b64_e32 v[6:7], 0
	s_wait_xcnt 0x0
	v_cmp_lt_i64_e64 s1, s[4:5], 3
	s_mov_b32 s0, -1
	s_and_b32 vcc_lo, exec_lo, s1
	v_lshlrev_b64_e32 v[12:13], 3, v[2:3]
	v_add_nc_u64_e32 v[2:3], s[24:25], v[0:1]
	s_mul_u64 s[24:25], s[2:3], s[4:5]
	s_delay_alu instid0(VALU_DEP_2) | instskip(SKIP_1) | instid1(VALU_DEP_2)
	v_add_nc_u64_e32 v[8:9], s[16:17], v[12:13]
	s_wait_kmcnt 0x0
	v_lshl_add_u64 v[10:11], v[2:3], 3, s[22:23]
	global_store_b64 v[10:11], v[4:5], off offset:8
	global_store_b64 v[8:9], v[6:7], off
	global_load_b64 v[6:7], v[10:11], off offset:8
	s_wait_xcnt 0x0
	v_add_nc_u64_e32 v[10:11], s[18:19], v[12:13]
	s_wait_loadcnt 0x0
	global_store_b64 v[10:11], v[6:7], off
	s_cbranch_vccz .LBB0_3
; %bb.2:
	s_lshl_b64 s[0:1], s[24:25], 3
	s_delay_alu instid0(SALU_CYCLE_1)
	s_add_nc_u64 s[0:1], s[22:23], s[0:1]
	s_wait_xcnt 0x0
	v_lshl_add_u64 v[6:7], v[2:3], 3, s[0:1]
	s_mov_b32 s0, 0
	global_store_b64 v[6:7], v[4:5], off offset:8
.LBB0_3:
	s_and_not1_b32 vcc_lo, exec_lo, s0
	s_cbranch_vccnz .LBB0_14
; %bb.4:
	s_lshl_b64 s[28:29], s[26:27], 11
	s_wait_xcnt 0x0
	v_dual_mov_b32 v7, s29 :: v_dual_lshlrev_b32 v4, 3, v0
	s_lshl_b64 s[30:31], s[4:5], 3
	s_add_nc_u64 s[0:1], s[20:21], s[28:29]
	s_sub_nc_u64 s[26:27], 0, s[30:31]
	s_delay_alu instid0(VALU_DEP_1) | instskip(SKIP_3) | instid1(VALU_DEP_1)
	v_or_b32_e32 v6, s28, v4
	s_add_nc_u64 s[0:1], s[0:1], s[30:31]
	s_add_nc_u64 s[36:37], s[4:5], -3
	s_mov_b32 s35, 0
	v_add_nc_u64_e32 v[6:7], 16, v[6:7]
	s_delay_alu instid0(VALU_DEP_1) | instskip(NEXT) | instid1(VALU_DEP_2)
	v_mul_lo_u32 v1, s4, v7
	v_mul_lo_u32 v5, s5, v6
	v_mad_nc_u64_u32 v[14:15], s4, v6, s[18:19]
	v_mad_nc_u64_u32 v[6:7], s4, v6, s[16:17]
	s_delay_alu instid0(VALU_DEP_2) | instskip(NEXT) | instid1(VALU_DEP_2)
	v_add3_u32 v15, v5, v15, v1
	v_add3_u32 v7, v5, v7, v1
	v_mov_b32_e32 v5, 0
	s_delay_alu instid0(VALU_DEP_3) | instskip(NEXT) | instid1(VALU_DEP_3)
	v_add_nc_u64_e32 v[14:15], -8, v[14:15]
	v_add_nc_u64_e32 v[6:7], -8, v[6:7]
	s_delay_alu instid0(VALU_DEP_3) | instskip(SKIP_1) | instid1(VALU_DEP_4)
	v_add_nc_u64_e32 v[16:17], s[0:1], v[4:5]
	v_cmp_lt_i64_e64 s1, s[30:31], 0
	v_cmp_lt_u64_e32 vcc_lo, v[8:9], v[14:15]
	s_delay_alu instid0(VALU_DEP_4) | instskip(NEXT) | instid1(VALU_DEP_4)
	v_cmp_lt_u64_e64 s0, v[10:11], v[6:7]
	v_add_nc_u64_e32 v[14:15], 8, v[16:17]
	v_add_nc_u64_e32 v[22:23], 16, v[16:17]
	v_fma_f64 v[6:7], s[12:13], 2.0, 1.0
	s_and_b32 s33, vcc_lo, s0
	s_and_b32 s0, s1, exec_lo
	s_cselect_b32 s39, s27, s31
	s_cselect_b32 s38, s26, s30
	s_mul_hi_u32 s0, s39, s36
	s_mul_i32 s43, s39, s36
	s_mul_hi_u32 s41, s38, s37
	s_mul_i32 s40, s38, s37
	s_mul_hi_u32 s34, s38, s36
	s_mul_hi_u32 s44, s39, s37
	s_mul_i32 s42, s39, s37
	s_mul_u64 s[36:37], s[38:39], s[36:37]
	s_add_nc_u64 s[38:39], s[34:35], s[40:41]
	v_add_nc_u64_e32 v[18:19], s[36:37], v[16:17]
	s_sub_nc_u64 s[40:41], 0, s[36:37]
	s_add_co_u32 s34, s38, s43
	v_add_nc_u64_e32 v[20:21], s[40:41], v[16:17]
	s_add_co_ci_u32 s34, s39, s0
	s_add_co_ci_u32 s43, s44, 0
	s_delay_alu instid0(VALU_DEP_2) | instskip(SKIP_2) | instid1(VALU_DEP_4)
	v_cmp_lt_u64_e32 vcc_lo, v[18:19], v[16:17]
	v_add_nc_u64_e32 v[24:25], 8, v[18:19]
	v_add_nc_u64_e32 v[18:19], 16, v[18:19]
	;; [unrolled: 1-line block ×3, first 2 shown]
	s_add_nc_u64 s[34:35], s[34:35], s[42:43]
	s_delay_alu instid0(SALU_CYCLE_1)
	s_and_b64 s[36:37], s[34:35], 0xffffffff00000000
	v_cndmask_b32_e64 v1, 0, 1, vcc_lo
	v_cmp_gt_u64_e32 vcc_lo, v[20:21], v[16:17]
	v_add_nc_u64_e32 v[16:17], 16, v[20:21]
	s_or_b32 s36, s36, s34
	s_add_nc_u64 s[34:35], s[4:5], -2
	s_cmp_lg_u64 s[36:37], 0
	s_cselect_b32 s36, -1, 0
	v_cndmask_b32_e64 v4, 0, 1, vcc_lo
	v_cmp_lt_u64_e32 vcc_lo, v[24:25], v[14:15]
	v_cndmask_b32_e64 v20, 0, 1, vcc_lo
	v_cmp_lt_u64_e32 vcc_lo, v[18:19], v[22:23]
	v_cndmask_b32_e64 v18, 0, 1, vcc_lo
	v_cmp_gt_u64_e32 vcc_lo, v[26:27], v[14:15]
	v_cndmask_b32_e64 v14, 0, 1, vcc_lo
	v_cmp_gt_u64_e32 vcc_lo, v[16:17], v[22:23]
	v_cndmask_b32_e64 v1, v1, v4, s1
	v_add_nc_u64_e32 v[16:17], 8, v[12:13]
	s_delay_alu instid0(VALU_DEP_2) | instskip(SKIP_1) | instid1(VALU_DEP_2)
	v_dual_cndmask_b32 v4, v20, v14, s1 :: v_dual_bitop2_b32 v1, 1, v1 bitop3:0x40
	v_cndmask_b32_e64 v15, 0, 1, vcc_lo
	v_and_b32_e32 v4, 1, v4
	s_delay_alu instid0(VALU_DEP_3) | instskip(NEXT) | instid1(VALU_DEP_3)
	v_cmp_eq_u32_e32 vcc_lo, 1, v1
	v_cndmask_b32_e64 v14, v18, v15, s1
	s_delay_alu instid0(VALU_DEP_3) | instskip(SKIP_4) | instid1(SALU_CYCLE_1)
	v_cmp_eq_u32_e64 s0, 1, v4
	v_lshlrev_b32_e32 v4, 3, v0
	s_or_b32 s37, vcc_lo, s36
	v_and_b32_e32 v14, 1, v14
	s_or_b32 s0, s0, s36
	s_or_b32 s0, s37, s0
	s_delay_alu instid0(VALU_DEP_1) | instskip(SKIP_1) | instid1(SALU_CYCLE_1)
	v_cmp_eq_u32_e64 s1, 1, v14
	s_or_b32 s1, s1, s36
	s_or_b32 s36, s0, s1
	s_add_nc_u64 s[0:1], s[28:29], s[30:31]
	s_nor_b32 s33, s33, s36
	s_add_nc_u64 s[0:1], s[20:21], s[0:1]
                                        ; implicit-def: $sgpr20_sgpr21
	s_and_saveexec_b32 s36, s33
	s_delay_alu instid0(SALU_CYCLE_1)
	s_xor_b32 s33, exec_lo, s36
	s_cbranch_execz .LBB0_8
; %bb.5:
	global_load_b64 v[12:13], v[8:9], off
	global_load_b64 v[14:15], v[10:11], off
	s_wait_xcnt 0x0
	v_add_nc_u64_e32 v[10:11], s[0:1], v[4:5]
	v_add_nc_u64_e32 v[0:1], s[18:19], v[16:17]
	;; [unrolled: 1-line block ×3, first 2 shown]
	s_add_nc_u64 s[20:21], s[4:5], -2
	s_delay_alu instid0(SALU_CYCLE_1) | instskip(NEXT) | instid1(VALU_DEP_3)
	s_mov_b64 s[36:37], s[20:21]
	v_add_nc_u64_e32 v[10:11], 16, v[10:11]
.LBB0_6:                                ; =>This Inner Loop Header: Depth=1
	s_wait_loadcnt 0x1
	v_fma_f64 v[20:21], s[6:7], v[12:13], s[8:9]
	s_add_nc_u64 s[36:37], s[36:37], -1
	s_delay_alu instid0(SALU_CYCLE_1) | instskip(NEXT) | instid1(VALU_DEP_1)
	s_cmp_eq_u64 s[36:37], 0
	v_div_scale_f64 v[12:13], null, v[20:21], v[20:21], -s[10:11]
	v_div_scale_f64 v[22:23], vcc_lo, -s[10:11], v[20:21], -s[10:11]
	s_delay_alu instid0(VALU_DEP_2) | instskip(SKIP_1) | instid1(TRANS32_DEP_1)
	v_rcp_f64_e32 v[16:17], v[12:13]
	v_nop
	v_fma_f64 v[18:19], -v[12:13], v[16:17], 1.0
	s_delay_alu instid0(VALU_DEP_1) | instskip(NEXT) | instid1(VALU_DEP_1)
	v_fmac_f64_e32 v[16:17], v[16:17], v[18:19]
	v_fma_f64 v[18:19], -v[12:13], v[16:17], 1.0
	s_delay_alu instid0(VALU_DEP_1) | instskip(NEXT) | instid1(VALU_DEP_1)
	v_fmac_f64_e32 v[16:17], v[16:17], v[18:19]
	v_mul_f64_e32 v[18:19], v[22:23], v[16:17]
	s_delay_alu instid0(VALU_DEP_1) | instskip(NEXT) | instid1(VALU_DEP_1)
	v_fma_f64 v[12:13], -v[12:13], v[18:19], v[22:23]
	v_div_fmas_f64 v[12:13], v[12:13], v[16:17], v[18:19]
	s_delay_alu instid0(VALU_DEP_1)
	v_div_fixup_f64 v[12:13], v[12:13], v[20:21], -s[10:11]
	global_store_b64 v[8:9], v[12:13], off
	s_clause 0x1
	global_load_b128 v[16:19], v[10:11], off offset:-16
	global_load_b64 v[22:23], v[10:11], off
	s_wait_xcnt 0x2
	v_add_nc_u64_e32 v[8:9], 8, v[8:9]
	s_wait_xcnt 0x0
	v_add_nc_u64_e32 v[10:11], s[30:31], v[10:11]
	s_wait_loadcnt 0x1
	v_mul_f64_e32 v[16:17], s[12:13], v[16:17]
	s_delay_alu instid0(VALU_DEP_1) | instskip(SKIP_1) | instid1(VALU_DEP_1)
	v_fma_f64 v[16:17], v[6:7], v[18:19], -v[16:17]
	s_wait_loadcnt 0x0
	v_fma_f64 v[16:17], -s[14:15], v[22:23], v[16:17]
	s_delay_alu instid0(VALU_DEP_1) | instskip(NEXT) | instid1(VALU_DEP_1)
	v_fma_f64 v[14:15], -s[6:7], v[14:15], v[16:17]
	v_div_scale_f64 v[16:17], null, v[20:21], v[20:21], v[14:15]
	v_div_scale_f64 v[24:25], vcc_lo, v[14:15], v[20:21], v[14:15]
	s_delay_alu instid0(VALU_DEP_2) | instskip(SKIP_1) | instid1(TRANS32_DEP_1)
	v_rcp_f64_e32 v[18:19], v[16:17]
	v_nop
	v_fma_f64 v[22:23], -v[16:17], v[18:19], 1.0
	s_delay_alu instid0(VALU_DEP_1) | instskip(NEXT) | instid1(VALU_DEP_1)
	v_fmac_f64_e32 v[18:19], v[18:19], v[22:23]
	v_fma_f64 v[22:23], -v[16:17], v[18:19], 1.0
	s_delay_alu instid0(VALU_DEP_1) | instskip(NEXT) | instid1(VALU_DEP_1)
	v_fmac_f64_e32 v[18:19], v[18:19], v[22:23]
	v_mul_f64_e32 v[22:23], v[24:25], v[18:19]
	s_delay_alu instid0(VALU_DEP_1) | instskip(NEXT) | instid1(VALU_DEP_1)
	v_fma_f64 v[16:17], -v[16:17], v[22:23], v[24:25]
	v_div_fmas_f64 v[16:17], v[16:17], v[18:19], v[22:23]
	s_delay_alu instid0(VALU_DEP_1)
	v_div_fixup_f64 v[14:15], v[16:17], v[20:21], v[14:15]
	global_store_b64 v[0:1], v[14:15], off
	s_wait_xcnt 0x0
	v_add_nc_u64_e32 v[0:1], 8, v[0:1]
	s_cbranch_scc0 .LBB0_6
; %bb.7:
                                        ; implicit-def: $vgpr6_vgpr7
                                        ; implicit-def: $vgpr16_vgpr17
.LBB0_8:
	s_or_saveexec_b32 s33, s33
	v_mov_b64_e32 v[0:1], s[20:21]
	s_xor_b32 exec_lo, exec_lo, s33
	s_cbranch_execz .LBB0_12
; %bb.9:
	v_mov_b32_e32 v5, 0
	v_add_nc_u64_e32 v[0:1], s[18:19], v[16:17]
	v_add_nc_u64_e32 v[10:11], s[16:17], v[16:17]
	s_delay_alu instid0(VALU_DEP_3) | instskip(SKIP_1) | instid1(VALU_DEP_1)
	v_add_nc_u64_e32 v[8:9], s[0:1], v[4:5]
	s_mov_b64 s[0:1], s[34:35]
	v_add_nc_u64_e32 v[8:9], 16, v[8:9]
.LBB0_10:                               ; =>This Inner Loop Header: Depth=1
	global_load_b64 v[12:13], v[10:11], off offset:-8
	s_add_nc_u64 s[0:1], s[0:1], -1
	s_delay_alu instid0(SALU_CYCLE_1) | instskip(SKIP_2) | instid1(VALU_DEP_1)
	s_cmp_eq_u64 s[0:1], 0
	s_wait_loadcnt 0x0
	v_fma_f64 v[16:17], s[6:7], v[12:13], s[8:9]
	v_div_scale_f64 v[12:13], null, v[16:17], v[16:17], -s[10:11]
	v_div_scale_f64 v[20:21], vcc_lo, -s[10:11], v[16:17], -s[10:11]
	s_delay_alu instid0(VALU_DEP_2) | instskip(SKIP_1) | instid1(TRANS32_DEP_1)
	v_rcp_f64_e32 v[14:15], v[12:13]
	v_nop
	v_fma_f64 v[18:19], -v[12:13], v[14:15], 1.0
	s_delay_alu instid0(VALU_DEP_1) | instskip(NEXT) | instid1(VALU_DEP_1)
	v_fmac_f64_e32 v[14:15], v[14:15], v[18:19]
	v_fma_f64 v[18:19], -v[12:13], v[14:15], 1.0
	s_delay_alu instid0(VALU_DEP_1) | instskip(NEXT) | instid1(VALU_DEP_1)
	v_fmac_f64_e32 v[14:15], v[14:15], v[18:19]
	v_mul_f64_e32 v[18:19], v[20:21], v[14:15]
	s_delay_alu instid0(VALU_DEP_1) | instskip(NEXT) | instid1(VALU_DEP_1)
	v_fma_f64 v[12:13], -v[12:13], v[18:19], v[20:21]
	v_div_fmas_f64 v[12:13], v[12:13], v[14:15], v[18:19]
	s_delay_alu instid0(VALU_DEP_1)
	v_div_fixup_f64 v[12:13], v[12:13], v[16:17], -s[10:11]
	global_store_b64 v[10:11], v[12:13], off
	s_clause 0x1
	global_load_b128 v[12:15], v[8:9], off offset:-16
	global_load_b64 v[18:19], v[8:9], off
	global_load_b64 v[20:21], v[0:1], off offset:-8
	v_add_nc_u64_e32 v[10:11], 8, v[10:11]
	s_wait_xcnt 0x1
	v_add_nc_u64_e32 v[8:9], s[30:31], v[8:9]
	s_wait_loadcnt 0x2
	v_mul_f64_e32 v[12:13], s[12:13], v[12:13]
	s_delay_alu instid0(VALU_DEP_1) | instskip(SKIP_1) | instid1(VALU_DEP_1)
	v_fma_f64 v[12:13], v[6:7], v[14:15], -v[12:13]
	s_wait_loadcnt 0x1
	v_fma_f64 v[12:13], -s[14:15], v[18:19], v[12:13]
	s_wait_loadcnt 0x0
	s_delay_alu instid0(VALU_DEP_1) | instskip(NEXT) | instid1(VALU_DEP_1)
	v_fma_f64 v[12:13], -s[6:7], v[20:21], v[12:13]
	v_div_scale_f64 v[14:15], null, v[16:17], v[16:17], v[12:13]
	v_div_scale_f64 v[22:23], vcc_lo, v[12:13], v[16:17], v[12:13]
	s_delay_alu instid0(VALU_DEP_2) | instskip(SKIP_1) | instid1(TRANS32_DEP_1)
	v_rcp_f64_e32 v[18:19], v[14:15]
	v_nop
	v_fma_f64 v[20:21], -v[14:15], v[18:19], 1.0
	s_delay_alu instid0(VALU_DEP_1) | instskip(NEXT) | instid1(VALU_DEP_1)
	v_fmac_f64_e32 v[18:19], v[18:19], v[20:21]
	v_fma_f64 v[20:21], -v[14:15], v[18:19], 1.0
	s_delay_alu instid0(VALU_DEP_1) | instskip(NEXT) | instid1(VALU_DEP_1)
	v_fmac_f64_e32 v[18:19], v[18:19], v[20:21]
	v_mul_f64_e32 v[20:21], v[22:23], v[18:19]
	s_delay_alu instid0(VALU_DEP_1) | instskip(NEXT) | instid1(VALU_DEP_1)
	v_fma_f64 v[14:15], -v[14:15], v[20:21], v[22:23]
	v_div_fmas_f64 v[14:15], v[14:15], v[18:19], v[20:21]
	s_delay_alu instid0(VALU_DEP_1)
	v_div_fixup_f64 v[12:13], v[14:15], v[16:17], v[12:13]
	global_store_b64 v[0:1], v[12:13], off
	s_wait_xcnt 0x0
	v_add_nc_u64_e32 v[0:1], 8, v[0:1]
	s_cbranch_scc0 .LBB0_10
; %bb.11:
	v_mov_b64_e32 v[0:1], s[34:35]
.LBB0_12:
	s_or_b32 exec_lo, exec_lo, s33
	v_add_nc_u64_e32 v[4:5], s[28:29], v[4:5]
	s_delay_alu instid0(VALU_DEP_2) | instskip(SKIP_2) | instid1(VALU_DEP_3)
	v_mul_u64_e32 v[0:1], s[4:5], v[0:1]
	s_lshl_b64 s[0:1], s[24:25], 3
	v_mov_b64_e32 v[12:13], 1.0
	v_add_nc_u64_e32 v[6:7], 16, v[4:5]
	v_add_nc_u64_e32 v[10:11], s[22:23], v[4:5]
	s_delay_alu instid0(VALU_DEP_2) | instskip(NEXT) | instid1(VALU_DEP_1)
	v_mad_nc_u64_u32 v[8:9], s4, v6, -16
	v_mad_u32 v6, s5, v6, v9
	v_lshlrev_b64_e32 v[0:1], 3, v[0:1]
	s_delay_alu instid0(VALU_DEP_2) | instskip(SKIP_1) | instid1(SALU_CYCLE_1)
	v_mad_u32 v9, s4, v7, v6
	s_add_nc_u64 s[4:5], s[22:23], s[0:1]
	v_lshl_add_u64 v[2:3], v[2:3], 3, s[4:5]
	global_store_b64 v[2:3], v[12:13], off offset:8
	v_add_nc_u64_e32 v[4:5], s[18:19], v[8:9]
	v_add_nc_u64_e32 v[6:7], s[16:17], v[8:9]
	;; [unrolled: 1-line block ×3, first 2 shown]
.LBB0_13:                               ; =>This Inner Loop Header: Depth=1
	s_wait_xcnt 0x0
	s_delay_alu instid0(VALU_DEP_1)
	v_add_nc_u64_e32 v[2:3], s[0:1], v[8:9]
	s_add_nc_u64 s[2:3], s[2:3], -1
	global_load_b64 v[10:11], v[6:7], off
	global_load_b64 v[12:13], v[4:5], off
	;; [unrolled: 1-line block ×3, first 2 shown]
	v_cmp_lt_u64_e64 s4, s[2:3], 2
	s_wait_xcnt 0x0
	v_add_nc_u64_e32 v[2:3], v[8:9], v[0:1]
	v_add_nc_u64_e32 v[4:5], -8, v[4:5]
	v_add_nc_u64_e32 v[6:7], -8, v[6:7]
	v_add_nc_u64_e32 v[8:9], s[26:27], v[8:9]
	s_and_b32 vcc_lo, exec_lo, s4
	s_wait_loadcnt 0x0
	v_fmac_f64_e32 v[12:13], v[10:11], v[14:15]
	global_store_b64 v[2:3], v[12:13], off
	s_cbranch_vccz .LBB0_13
.LBB0_14:
	s_endpgm
	.section	.rodata,"a",@progbits
	.p2align	6, 0x0
	.amdhsa_kernel _ZN8rajaperf9polybench9poly_adi1ILm256EEEvldddddPdS2_S2_S2_
		.amdhsa_group_segment_fixed_size 0
		.amdhsa_private_segment_fixed_size 0
		.amdhsa_kernarg_size 80
		.amdhsa_user_sgpr_count 2
		.amdhsa_user_sgpr_dispatch_ptr 0
		.amdhsa_user_sgpr_queue_ptr 0
		.amdhsa_user_sgpr_kernarg_segment_ptr 1
		.amdhsa_user_sgpr_dispatch_id 0
		.amdhsa_user_sgpr_kernarg_preload_length 0
		.amdhsa_user_sgpr_kernarg_preload_offset 0
		.amdhsa_user_sgpr_private_segment_size 0
		.amdhsa_wavefront_size32 1
		.amdhsa_uses_dynamic_stack 0
		.amdhsa_enable_private_segment 0
		.amdhsa_system_sgpr_workgroup_id_x 1
		.amdhsa_system_sgpr_workgroup_id_y 0
		.amdhsa_system_sgpr_workgroup_id_z 0
		.amdhsa_system_sgpr_workgroup_info 0
		.amdhsa_system_vgpr_workitem_id 0
		.amdhsa_next_free_vgpr 28
		.amdhsa_next_free_sgpr 45
		.amdhsa_named_barrier_count 0
		.amdhsa_reserve_vcc 1
		.amdhsa_float_round_mode_32 0
		.amdhsa_float_round_mode_16_64 0
		.amdhsa_float_denorm_mode_32 3
		.amdhsa_float_denorm_mode_16_64 3
		.amdhsa_fp16_overflow 0
		.amdhsa_memory_ordered 1
		.amdhsa_forward_progress 1
		.amdhsa_inst_pref_size 15
		.amdhsa_round_robin_scheduling 0
		.amdhsa_exception_fp_ieee_invalid_op 0
		.amdhsa_exception_fp_denorm_src 0
		.amdhsa_exception_fp_ieee_div_zero 0
		.amdhsa_exception_fp_ieee_overflow 0
		.amdhsa_exception_fp_ieee_underflow 0
		.amdhsa_exception_fp_ieee_inexact 0
		.amdhsa_exception_int_div_zero 0
	.end_amdhsa_kernel
	.section	.text._ZN8rajaperf9polybench9poly_adi1ILm256EEEvldddddPdS2_S2_S2_,"axG",@progbits,_ZN8rajaperf9polybench9poly_adi1ILm256EEEvldddddPdS2_S2_S2_,comdat
.Lfunc_end0:
	.size	_ZN8rajaperf9polybench9poly_adi1ILm256EEEvldddddPdS2_S2_S2_, .Lfunc_end0-_ZN8rajaperf9polybench9poly_adi1ILm256EEEvldddddPdS2_S2_S2_
                                        ; -- End function
	.set _ZN8rajaperf9polybench9poly_adi1ILm256EEEvldddddPdS2_S2_S2_.num_vgpr, 28
	.set _ZN8rajaperf9polybench9poly_adi1ILm256EEEvldddddPdS2_S2_S2_.num_agpr, 0
	.set _ZN8rajaperf9polybench9poly_adi1ILm256EEEvldddddPdS2_S2_S2_.numbered_sgpr, 45
	.set _ZN8rajaperf9polybench9poly_adi1ILm256EEEvldddddPdS2_S2_S2_.num_named_barrier, 0
	.set _ZN8rajaperf9polybench9poly_adi1ILm256EEEvldddddPdS2_S2_S2_.private_seg_size, 0
	.set _ZN8rajaperf9polybench9poly_adi1ILm256EEEvldddddPdS2_S2_S2_.uses_vcc, 1
	.set _ZN8rajaperf9polybench9poly_adi1ILm256EEEvldddddPdS2_S2_S2_.uses_flat_scratch, 0
	.set _ZN8rajaperf9polybench9poly_adi1ILm256EEEvldddddPdS2_S2_S2_.has_dyn_sized_stack, 0
	.set _ZN8rajaperf9polybench9poly_adi1ILm256EEEvldddddPdS2_S2_S2_.has_recursion, 0
	.set _ZN8rajaperf9polybench9poly_adi1ILm256EEEvldddddPdS2_S2_S2_.has_indirect_call, 0
	.section	.AMDGPU.csdata,"",@progbits
; Kernel info:
; codeLenInByte = 1812
; TotalNumSgprs: 47
; NumVgprs: 28
; ScratchSize: 0
; MemoryBound: 0
; FloatMode: 240
; IeeeMode: 1
; LDSByteSize: 0 bytes/workgroup (compile time only)
; SGPRBlocks: 0
; VGPRBlocks: 1
; NumSGPRsForWavesPerEU: 47
; NumVGPRsForWavesPerEU: 28
; NamedBarCnt: 0
; Occupancy: 16
; WaveLimiterHint : 0
; COMPUTE_PGM_RSRC2:SCRATCH_EN: 0
; COMPUTE_PGM_RSRC2:USER_SGPR: 2
; COMPUTE_PGM_RSRC2:TRAP_HANDLER: 0
; COMPUTE_PGM_RSRC2:TGID_X_EN: 1
; COMPUTE_PGM_RSRC2:TGID_Y_EN: 0
; COMPUTE_PGM_RSRC2:TGID_Z_EN: 0
; COMPUTE_PGM_RSRC2:TIDIG_COMP_CNT: 0
	.section	.text._ZN8rajaperf9polybench9poly_adi2ILm256EEEvldddddPdS2_S2_S2_,"axG",@progbits,_ZN8rajaperf9polybench9poly_adi2ILm256EEEvldddddPdS2_S2_S2_,comdat
	.protected	_ZN8rajaperf9polybench9poly_adi2ILm256EEEvldddddPdS2_S2_S2_ ; -- Begin function _ZN8rajaperf9polybench9poly_adi2ILm256EEEvldddddPdS2_S2_S2_
	.globl	_ZN8rajaperf9polybench9poly_adi2ILm256EEEvldddddPdS2_S2_S2_
	.p2align	8
	.type	_ZN8rajaperf9polybench9poly_adi2ILm256EEEvldddddPdS2_S2_S2_,@function
_ZN8rajaperf9polybench9poly_adi2ILm256EEEvldddddPdS2_S2_S2_: ; @_ZN8rajaperf9polybench9poly_adi2ILm256EEEvldddddPdS2_S2_S2_
; %bb.0:
	s_load_b512 s[4:19], s[0:1], 0x0
	s_bfe_u32 s2, ttmp6, 0x4000c
	s_and_b32 s20, ttmp6, 15
	s_add_co_i32 s2, s2, 1
	s_getreg_b32 s21, hwreg(HW_REG_IB_STS2, 6, 4)
	s_mul_i32 s2, ttmp9, s2
	v_dual_mov_b32 v3, 0 :: v_dual_add_nc_u32 v2, 1, v0
	s_add_co_i32 s20, s20, s2
	s_cmp_eq_u32 s21, 0
	s_mov_b32 s3, 0
	s_cselect_b32 s2, ttmp9, s20
	s_mov_b32 s20, exec_lo
	s_lshl_b64 s[30:31], s[2:3], 8
	s_delay_alu instid0(SALU_CYCLE_1)
	v_add_nc_u64_e32 v[2:3], s[30:31], v[2:3]
	s_wait_kmcnt 0x0
	s_add_nc_u64 s[24:25], s[4:5], -1
	s_delay_alu instid0(VALU_DEP_1) | instid1(SALU_CYCLE_1)
	v_cmpx_gt_i64_e64 s[24:25], v[2:3]
	s_cbranch_execz .LBB1_16
; %bb.1:
	v_mul_u64_e32 v[6:7], s[4:5], v[2:3]
	s_load_b128 s[20:23], s[0:1], 0x40
	v_mov_b64_e32 v[8:9], 1.0
	v_mov_b64_e32 v[2:3], 0
	s_wait_xcnt 0x0
	v_cmp_lt_i64_e64 s1, s[4:5], 3
	s_mov_b32 s0, -1
	s_and_b32 vcc_lo, exec_lo, s1
	v_lshlrev_b64_e32 v[4:5], 3, v[6:7]
	s_wait_kmcnt 0x0
	s_delay_alu instid0(VALU_DEP_1)
	v_add_nc_u64_e32 v[10:11], s[20:21], v[4:5]
	v_add_nc_u64_e32 v[12:13], s[16:17], v[4:5]
	;; [unrolled: 1-line block ×3, first 2 shown]
	global_store_b64 v[10:11], v[8:9], off
	global_store_b64 v[12:13], v[2:3], off
	global_load_b64 v[16:17], v[10:11], off
	s_wait_xcnt 0x1
	v_lshl_add_u64 v[2:3], s[4:5], 3, v[10:11]
	s_wait_loadcnt 0x0
	global_store_b64 v[14:15], v[16:17], off
	s_cbranch_vccz .LBB1_3
; %bb.2:
	s_mov_b32 s0, 0
	global_store_b64 v[2:3], v[8:9], off offset:-8
.LBB1_3:
	s_and_not1_b32 vcc_lo, exec_lo, s0
	s_cbranch_vccnz .LBB1_16
; %bb.4:
	s_wait_xcnt 0x0
	v_sub_nc_u64_e64 v[8:9], v[6:7], s[4:5]
	s_lshl_b64 s[26:27], s[2:3], 11
	s_add_nc_u64 s[28:29], s[4:5], -3
	v_lshl_or_b32 v6, v0, 3, s26
	v_mov_b32_e32 v7, s27
	s_lshl_b64 s[0:1], s[28:29], 3
	s_mov_b64 s[34:35], 0x1fffffffffffffff
	v_lshl_add_u64 v[10:11], s[4:5], 1, v[8:9]
	v_cmp_gt_u64_e64 s33, s[28:29], s[34:35]
	v_add_nc_u64_e32 v[16:17], 16, v[6:7]
	s_delay_alu instid0(VALU_DEP_3) | instskip(SKIP_2) | instid1(VALU_DEP_4)
	v_lshlrev_b64_e32 v[6:7], 3, v[10:11]
	v_lshl_add_u64 v[10:11], v[8:9], 3, s[22:23]
	v_fma_f64 v[8:9], s[6:7], 2.0, 1.0
	v_mul_lo_u32 v1, s4, v17
	v_mul_lo_u32 v26, s5, v16
	v_mad_nc_u64_u32 v[18:19], s4, v16, s[18:19]
	v_mad_nc_u64_u32 v[16:17], s4, v16, s[16:17]
	v_add_nc_u64_e32 v[20:21], s[22:23], v[6:7]
	v_add_nc_u64_e32 v[22:23], s[0:1], v[10:11]
	;; [unrolled: 1-line block ×3, first 2 shown]
	s_delay_alu instid0(VALU_DEP_3) | instskip(NEXT) | instid1(VALU_DEP_3)
	v_add_nc_u64_e32 v[24:25], s[0:1], v[20:21]
	v_add_nc_u64_e32 v[22:23], 8, v[22:23]
	v_add3_u32 v19, v26, v19, v1
	v_add3_u32 v17, v26, v17, v1
	v_add_nc_u64_e32 v[20:21], 8, v[20:21]
	s_delay_alu instid0(VALU_DEP_3) | instskip(SKIP_1) | instid1(VALU_DEP_4)
	v_add_nc_u64_e32 v[18:19], -8, v[18:19]
	v_add_nc_u64_e32 v[24:25], 8, v[24:25]
	v_add_nc_u64_e32 v[16:17], -8, v[16:17]
	v_cmp_lt_u64_e32 vcc_lo, v[22:23], v[10:11]
	s_delay_alu instid0(VALU_DEP_4) | instskip(NEXT) | instid1(VALU_DEP_4)
	v_cmp_lt_u64_e64 s0, v[12:13], v[18:19]
	v_cmp_lt_u64_e64 s1, v[24:25], v[20:21]
	s_delay_alu instid0(VALU_DEP_4)
	v_cmp_lt_u64_e64 s2, v[14:15], v[16:17]
	v_add_nc_u64_e32 v[24:25], 8, v[4:5]
	v_lshlrev_b32_e32 v4, 3, v0
	s_or_b32 s1, s1, vcc_lo
	s_and_b32 s0, s0, s2
	s_or_b32 s1, s1, s33
	s_delay_alu instid0(SALU_CYCLE_1) | instskip(SKIP_2) | instid1(SALU_CYCLE_1)
	s_nor_b32 s2, s0, s1
	s_add_nc_u64 s[0:1], s[4:5], -2
	s_and_saveexec_b32 s3, s2
	s_xor_b32 s34, exec_lo, s3
	s_cbranch_execz .LBB1_7
; %bb.5:
	global_load_b64 v[16:17], v[12:13], off
	global_load_b64 v[18:19], v[14:15], off
	v_mov_b32_e32 v5, 0
	s_wait_xcnt 0x1
	v_add_nc_u64_e32 v[12:13], s[18:19], v[24:25]
	s_wait_xcnt 0x0
	v_add_nc_u64_e32 v[14:15], s[16:17], v[24:25]
	v_add_nc_u64_e32 v[20:21], s[22:23], v[24:25]
	s_add_nc_u64 s[2:3], s[4:5], -2
	v_add_nc_u64_e32 v[0:1], s[26:27], v[4:5]
	s_delay_alu instid0(VALU_DEP_1) | instskip(NEXT) | instid1(VALU_DEP_1)
	v_add_nc_u64_e32 v[0:1], 16, v[0:1]
	v_mad_nc_u64_u32 v[22:23], s4, v0, s[22:23]
	s_delay_alu instid0(VALU_DEP_1) | instskip(NEXT) | instid1(VALU_DEP_1)
	v_mad_u32 v0, s5, v0, v23
	v_mad_u32 v23, s4, v1, v0
	s_delay_alu instid0(VALU_DEP_1)
	v_add_nc_u64_e32 v[22:23], 8, v[22:23]
.LBB1_6:                                ; =>This Inner Loop Header: Depth=1
	s_wait_loadcnt 0x1
	v_fma_f64 v[0:1], s[10:11], v[16:17], s[12:13]
	s_add_nc_u64 s[2:3], s[2:3], -1
	s_delay_alu instid0(SALU_CYCLE_1) | instskip(NEXT) | instid1(VALU_DEP_1)
	s_cmp_eq_u64 s[2:3], 0
	v_div_scale_f64 v[16:17], null, v[0:1], v[0:1], -s[14:15]
	v_div_scale_f64 v[28:29], vcc_lo, -s[14:15], v[0:1], -s[14:15]
	s_delay_alu instid0(VALU_DEP_2) | instskip(SKIP_1) | instid1(TRANS32_DEP_1)
	v_rcp_f64_e32 v[24:25], v[16:17]
	v_nop
	v_fma_f64 v[26:27], -v[16:17], v[24:25], 1.0
	s_delay_alu instid0(VALU_DEP_1) | instskip(NEXT) | instid1(VALU_DEP_1)
	v_fmac_f64_e32 v[24:25], v[24:25], v[26:27]
	v_fma_f64 v[26:27], -v[16:17], v[24:25], 1.0
	s_delay_alu instid0(VALU_DEP_1) | instskip(NEXT) | instid1(VALU_DEP_1)
	v_fmac_f64_e32 v[24:25], v[24:25], v[26:27]
	v_mul_f64_e32 v[26:27], v[28:29], v[24:25]
	s_delay_alu instid0(VALU_DEP_1) | instskip(NEXT) | instid1(VALU_DEP_1)
	v_fma_f64 v[16:17], -v[16:17], v[26:27], v[28:29]
	v_div_fmas_f64 v[16:17], v[16:17], v[24:25], v[26:27]
	s_delay_alu instid0(VALU_DEP_1)
	v_div_fixup_f64 v[16:17], v[16:17], v[0:1], -s[14:15]
	global_store_b64 v[14:15], v[16:17], off
	global_load_b64 v[24:25], v[10:11], off
	global_load_b64 v[26:27], v[20:21], off
	;; [unrolled: 1-line block ×3, first 2 shown]
	s_wait_xcnt 0x3
	v_add_nc_u64_e32 v[14:15], 8, v[14:15]
	s_wait_xcnt 0x1
	v_add_nc_u64_e32 v[20:21], 8, v[20:21]
	;; [unrolled: 2-line block ×3, first 2 shown]
	v_add_nc_u64_e32 v[10:11], 8, v[10:11]
	s_wait_loadcnt 0x2
	v_mul_f64_e32 v[24:25], s[6:7], v[24:25]
	s_wait_loadcnt 0x1
	s_delay_alu instid0(VALU_DEP_1) | instskip(SKIP_1) | instid1(VALU_DEP_1)
	v_fma_f64 v[24:25], v[8:9], v[26:27], -v[24:25]
	s_wait_loadcnt 0x0
	v_fma_f64 v[24:25], -s[8:9], v[28:29], v[24:25]
	s_delay_alu instid0(VALU_DEP_1) | instskip(NEXT) | instid1(VALU_DEP_1)
	v_fma_f64 v[18:19], -s[10:11], v[18:19], v[24:25]
	v_div_scale_f64 v[24:25], null, v[0:1], v[0:1], v[18:19]
	v_div_scale_f64 v[30:31], vcc_lo, v[18:19], v[0:1], v[18:19]
	s_delay_alu instid0(VALU_DEP_2) | instskip(SKIP_1) | instid1(TRANS32_DEP_1)
	v_rcp_f64_e32 v[26:27], v[24:25]
	v_nop
	v_fma_f64 v[28:29], -v[24:25], v[26:27], 1.0
	s_delay_alu instid0(VALU_DEP_1) | instskip(NEXT) | instid1(VALU_DEP_1)
	v_fmac_f64_e32 v[26:27], v[26:27], v[28:29]
	v_fma_f64 v[28:29], -v[24:25], v[26:27], 1.0
	s_delay_alu instid0(VALU_DEP_1) | instskip(NEXT) | instid1(VALU_DEP_1)
	v_fmac_f64_e32 v[26:27], v[26:27], v[28:29]
	v_mul_f64_e32 v[28:29], v[30:31], v[26:27]
	s_delay_alu instid0(VALU_DEP_1) | instskip(NEXT) | instid1(VALU_DEP_1)
	v_fma_f64 v[24:25], -v[24:25], v[28:29], v[30:31]
	v_div_fmas_f64 v[24:25], v[24:25], v[26:27], v[28:29]
	s_delay_alu instid0(VALU_DEP_1)
	v_div_fixup_f64 v[18:19], v[24:25], v[0:1], v[18:19]
                                        ; implicit-def: $vgpr24_vgpr25
                                        ; implicit-def: $vgpr0
	global_store_b64 v[12:13], v[18:19], off
	s_wait_xcnt 0x0
	v_add_nc_u64_e32 v[12:13], 8, v[12:13]
	s_cbranch_scc0 .LBB1_6
.LBB1_7:
	s_and_not1_saveexec_b32 s2, s34
	s_cbranch_execz .LBB1_10
; %bb.8:
	v_mov_b32_e32 v1, 0
	v_add_nc_u64_e32 v[14:15], s[16:17], v[24:25]
	s_delay_alu instid0(VALU_DEP_2) | instskip(SKIP_1) | instid1(VALU_DEP_2)
	v_mov_b32_e32 v5, v1
	v_add_nc_u64_e32 v[0:1], s[30:31], v[0:1]
	v_add_nc_u64_e32 v[10:11], s[26:27], v[4:5]
	s_delay_alu instid0(VALU_DEP_2) | instskip(NEXT) | instid1(VALU_DEP_2)
	v_mul_u64_e32 v[0:1], s[4:5], v[0:1]
	v_add_nc_u64_e32 v[10:11], 16, v[10:11]
	s_delay_alu instid0(VALU_DEP_1) | instskip(NEXT) | instid1(VALU_DEP_1)
	v_mad_nc_u64_u32 v[16:17], s4, v10, s[22:23]
	v_mad_u32 v5, s5, v10, v17
	s_delay_alu instid0(VALU_DEP_4) | instskip(NEXT) | instid1(VALU_DEP_2)
	v_lshl_add_u64 v[12:13], v[0:1], 3, s[22:23]
	v_mad_u32 v17, s4, v11, v5
	v_add_nc_u64_e32 v[0:1], s[22:23], v[24:25]
	v_add_nc_u64_e32 v[10:11], s[18:19], v[24:25]
	s_delay_alu instid0(VALU_DEP_4) | instskip(NEXT) | instid1(VALU_DEP_4)
	v_add_nc_u64_e32 v[12:13], 8, v[12:13]
	v_add_nc_u64_e32 v[16:17], 8, v[16:17]
.LBB1_9:                                ; =>This Inner Loop Header: Depth=1
	global_load_b64 v[18:19], v[14:15], off offset:-8
	s_add_nc_u64 s[0:1], s[0:1], -1
	s_delay_alu instid0(SALU_CYCLE_1) | instskip(SKIP_2) | instid1(VALU_DEP_1)
	s_cmp_eq_u64 s[0:1], 0
	s_wait_loadcnt 0x0
	v_fma_f64 v[18:19], s[10:11], v[18:19], s[12:13]
	v_div_scale_f64 v[20:21], null, v[18:19], v[18:19], -s[14:15]
	v_div_scale_f64 v[26:27], vcc_lo, -s[14:15], v[18:19], -s[14:15]
	s_delay_alu instid0(VALU_DEP_2) | instskip(SKIP_1) | instid1(TRANS32_DEP_1)
	v_rcp_f64_e32 v[22:23], v[20:21]
	v_nop
	v_fma_f64 v[24:25], -v[20:21], v[22:23], 1.0
	s_delay_alu instid0(VALU_DEP_1) | instskip(NEXT) | instid1(VALU_DEP_1)
	v_fmac_f64_e32 v[22:23], v[22:23], v[24:25]
	v_fma_f64 v[24:25], -v[20:21], v[22:23], 1.0
	s_delay_alu instid0(VALU_DEP_1) | instskip(NEXT) | instid1(VALU_DEP_1)
	v_fmac_f64_e32 v[22:23], v[22:23], v[24:25]
	v_mul_f64_e32 v[24:25], v[26:27], v[22:23]
	s_delay_alu instid0(VALU_DEP_1) | instskip(NEXT) | instid1(VALU_DEP_1)
	v_fma_f64 v[20:21], -v[20:21], v[24:25], v[26:27]
	v_div_fmas_f64 v[20:21], v[20:21], v[22:23], v[24:25]
	s_delay_alu instid0(VALU_DEP_1)
	v_div_fixup_f64 v[20:21], v[20:21], v[18:19], -s[14:15]
	global_store_b64 v[14:15], v[20:21], off
	global_load_b64 v[20:21], v[12:13], off
	global_load_b64 v[22:23], v[0:1], off
	;; [unrolled: 1-line block ×3, first 2 shown]
	global_load_b64 v[26:27], v[10:11], off offset:-8
	v_add_nc_u64_e32 v[14:15], 8, v[14:15]
	s_wait_xcnt 0x2
	v_add_nc_u64_e32 v[0:1], 8, v[0:1]
	v_add_nc_u64_e32 v[12:13], 8, v[12:13]
	s_wait_xcnt 0x1
	v_add_nc_u64_e32 v[16:17], 8, v[16:17]
	s_wait_loadcnt 0x3
	v_mul_f64_e32 v[20:21], s[6:7], v[20:21]
	s_wait_loadcnt 0x2
	s_delay_alu instid0(VALU_DEP_1) | instskip(SKIP_1) | instid1(VALU_DEP_1)
	v_fma_f64 v[20:21], v[8:9], v[22:23], -v[20:21]
	s_wait_loadcnt 0x1
	v_fma_f64 v[20:21], -s[8:9], v[24:25], v[20:21]
	s_wait_loadcnt 0x0
	s_delay_alu instid0(VALU_DEP_1) | instskip(NEXT) | instid1(VALU_DEP_1)
	v_fma_f64 v[20:21], -s[10:11], v[26:27], v[20:21]
	v_div_scale_f64 v[22:23], null, v[18:19], v[18:19], v[20:21]
	v_div_scale_f64 v[28:29], vcc_lo, v[20:21], v[18:19], v[20:21]
	s_delay_alu instid0(VALU_DEP_2) | instskip(SKIP_1) | instid1(TRANS32_DEP_1)
	v_rcp_f64_e32 v[24:25], v[22:23]
	v_nop
	v_fma_f64 v[26:27], -v[22:23], v[24:25], 1.0
	s_delay_alu instid0(VALU_DEP_1) | instskip(NEXT) | instid1(VALU_DEP_1)
	v_fmac_f64_e32 v[24:25], v[24:25], v[26:27]
	v_fma_f64 v[26:27], -v[22:23], v[24:25], 1.0
	s_delay_alu instid0(VALU_DEP_1) | instskip(NEXT) | instid1(VALU_DEP_1)
	v_fmac_f64_e32 v[24:25], v[24:25], v[26:27]
	v_mul_f64_e32 v[26:27], v[28:29], v[24:25]
	s_delay_alu instid0(VALU_DEP_1) | instskip(NEXT) | instid1(VALU_DEP_1)
	v_fma_f64 v[22:23], -v[22:23], v[26:27], v[28:29]
	v_div_fmas_f64 v[22:23], v[22:23], v[24:25], v[26:27]
	s_delay_alu instid0(VALU_DEP_1)
	v_div_fixup_f64 v[18:19], v[22:23], v[18:19], v[20:21]
	global_store_b64 v[10:11], v[18:19], off
	s_wait_xcnt 0x0
	v_add_nc_u64_e32 v[10:11], 8, v[10:11]
	s_cbranch_scc0 .LBB1_9
.LBB1_10:
	s_or_b32 exec_lo, exec_lo, s2
	v_add_nc_u64_e32 v[6:7], s[20:21], v[6:7]
	s_lshl_b32 s0, s29, 3
	s_xor_b32 s1, s33, -1
	s_delay_alu instid0(VALU_DEP_1) | instskip(NEXT) | instid1(VALU_DEP_1)
	v_mad_nc_u64_u32 v[8:9], s28, -8, v[6:7]
	v_subrev_nc_u32_e32 v0, s0, v9
	s_delay_alu instid0(VALU_DEP_1) | instskip(SKIP_2) | instid1(VALU_DEP_3)
	v_subrev_nc_u32_e32 v9, s28, v0
	v_add_nc_u64_e32 v[0:1], -8, v[6:7]
	v_add_nc_u64_e32 v[6:7], -16, v[6:7]
	;; [unrolled: 1-line block ×4, first 2 shown]
	s_delay_alu instid0(VALU_DEP_2) | instskip(NEXT) | instid1(VALU_DEP_2)
	v_cmp_le_u64_e32 vcc_lo, v[10:11], v[0:1]
	v_cmp_le_u64_e64 s0, v[8:9], v[6:7]
	v_mov_b64_e32 v[6:7], 1.0
	s_and_b32 s1, vcc_lo, s1
	global_store_b64 v[2:3], v[6:7], off offset:-8
	s_and_b32 s0, s0, s1
	s_wait_xcnt 0x0
	s_and_saveexec_b32 s1, s0
	s_delay_alu instid0(SALU_CYCLE_1)
	s_xor_b32 s2, exec_lo, s1
	s_cbranch_execz .LBB1_13
; %bb.11:
	global_load_b64 v[8:9], v[0:1], off
	v_mov_b32_e32 v5, 0
	s_mov_b64 s[0:1], s[24:25]
	s_wait_xcnt 0x0
	s_delay_alu instid0(VALU_DEP_1) | instskip(NEXT) | instid1(VALU_DEP_1)
	v_add_nc_u64_e32 v[0:1], s[26:27], v[4:5]
	v_add_nc_u64_e32 v[0:1], 16, v[0:1]
	s_delay_alu instid0(VALU_DEP_1) | instskip(NEXT) | instid1(VALU_DEP_1)
	v_mad_nc_u64_u32 v[4:5], s4, v0, -16
	v_mad_u32 v0, s5, v0, v5
	s_delay_alu instid0(VALU_DEP_1) | instskip(NEXT) | instid1(VALU_DEP_1)
	v_mad_u32 v5, s4, v1, v0
	v_add_nc_u64_e32 v[0:1], s[18:19], v[4:5]
	v_add_nc_u64_e32 v[2:3], s[20:21], v[4:5]
	;; [unrolled: 1-line block ×3, first 2 shown]
.LBB1_12:                               ; =>This Inner Loop Header: Depth=1
	global_load_b64 v[4:5], v[6:7], off
	global_load_b64 v[10:11], v[0:1], off
	s_add_nc_u64 s[0:1], s[0:1], -1
	s_wait_xcnt 0x0
	v_add_nc_u64_e32 v[0:1], -8, v[0:1]
	v_cmp_lt_u64_e64 s3, s[0:1], 2
	v_add_nc_u64_e32 v[6:7], -8, v[6:7]
	s_and_b32 vcc_lo, exec_lo, s3
	s_wait_loadcnt 0x0
	v_fmac_f64_e32 v[10:11], v[4:5], v[8:9]
                                        ; implicit-def: $vgpr4
	global_store_b64 v[2:3], v[10:11], off
	s_wait_xcnt 0x0
	v_add_nc_u64_e32 v[2:3], -8, v[2:3]
	v_mov_b64_e32 v[8:9], v[10:11]
	s_cbranch_vccz .LBB1_12
.LBB1_13:
	s_and_not1_saveexec_b32 s0, s2
	s_cbranch_execz .LBB1_16
; %bb.14:
	v_mov_b32_e32 v5, 0
	s_delay_alu instid0(VALU_DEP_1) | instskip(NEXT) | instid1(VALU_DEP_1)
	v_add_nc_u64_e32 v[0:1], s[26:27], v[4:5]
	v_add_nc_u64_e32 v[0:1], 16, v[0:1]
	s_delay_alu instid0(VALU_DEP_1) | instskip(NEXT) | instid1(VALU_DEP_2)
	v_mul_lo_u32 v1, s4, v1
	v_mul_lo_u32 v4, s5, v0
	v_mad_nc_u64_u32 v[2:3], s4, v0, s[20:21]
	v_mad_nc_u64_u32 v[8:9], s4, v0, -16
	s_delay_alu instid0(VALU_DEP_2) | instskip(NEXT) | instid1(VALU_DEP_2)
	v_add3_u32 v3, v4, v3, v1
	v_add3_u32 v9, v4, v9, v1
	global_load_b64 v[6:7], v[2:3], off offset:-8
	v_add_nc_u64_e32 v[0:1], s[18:19], v[8:9]
	v_add_nc_u64_e32 v[4:5], -8, v[2:3]
	s_wait_xcnt 0x0
	v_add_nc_u64_e32 v[2:3], s[16:17], v[8:9]
.LBB1_15:                               ; =>This Inner Loop Header: Depth=1
	global_load_b64 v[8:9], v[2:3], off
	global_load_b64 v[10:11], v[0:1], off
	s_add_nc_u64 s[24:25], s[24:25], -1
	s_wait_xcnt 0x0
	v_add_nc_u64_e32 v[0:1], -8, v[0:1]
	v_cmp_lt_u64_e64 s0, s[24:25], 2
	v_add_nc_u64_e32 v[2:3], -8, v[2:3]
	s_and_b32 vcc_lo, exec_lo, s0
	s_wait_loadcnt 0x0
	v_fmac_f64_e32 v[10:11], v[8:9], v[6:7]
	v_add_nc_u64_e32 v[8:9], -8, v[4:5]
	global_store_b64 v[4:5], v[10:11], off offset:-8
	v_mov_b64_e32 v[6:7], v[10:11]
	s_wait_xcnt 0x0
	v_mov_b64_e32 v[4:5], v[8:9]
	s_cbranch_vccz .LBB1_15
.LBB1_16:
	s_endpgm
	.section	.rodata,"a",@progbits
	.p2align	6, 0x0
	.amdhsa_kernel _ZN8rajaperf9polybench9poly_adi2ILm256EEEvldddddPdS2_S2_S2_
		.amdhsa_group_segment_fixed_size 0
		.amdhsa_private_segment_fixed_size 0
		.amdhsa_kernarg_size 80
		.amdhsa_user_sgpr_count 2
		.amdhsa_user_sgpr_dispatch_ptr 0
		.amdhsa_user_sgpr_queue_ptr 0
		.amdhsa_user_sgpr_kernarg_segment_ptr 1
		.amdhsa_user_sgpr_dispatch_id 0
		.amdhsa_user_sgpr_kernarg_preload_length 0
		.amdhsa_user_sgpr_kernarg_preload_offset 0
		.amdhsa_user_sgpr_private_segment_size 0
		.amdhsa_wavefront_size32 1
		.amdhsa_uses_dynamic_stack 0
		.amdhsa_enable_private_segment 0
		.amdhsa_system_sgpr_workgroup_id_x 1
		.amdhsa_system_sgpr_workgroup_id_y 0
		.amdhsa_system_sgpr_workgroup_id_z 0
		.amdhsa_system_sgpr_workgroup_info 0
		.amdhsa_system_vgpr_workitem_id 0
		.amdhsa_next_free_vgpr 32
		.amdhsa_next_free_sgpr 36
		.amdhsa_named_barrier_count 0
		.amdhsa_reserve_vcc 1
		.amdhsa_float_round_mode_32 0
		.amdhsa_float_round_mode_16_64 0
		.amdhsa_float_denorm_mode_32 3
		.amdhsa_float_denorm_mode_16_64 3
		.amdhsa_fp16_overflow 0
		.amdhsa_memory_ordered 1
		.amdhsa_forward_progress 1
		.amdhsa_inst_pref_size 16
		.amdhsa_round_robin_scheduling 0
		.amdhsa_exception_fp_ieee_invalid_op 0
		.amdhsa_exception_fp_denorm_src 0
		.amdhsa_exception_fp_ieee_div_zero 0
		.amdhsa_exception_fp_ieee_overflow 0
		.amdhsa_exception_fp_ieee_underflow 0
		.amdhsa_exception_fp_ieee_inexact 0
		.amdhsa_exception_int_div_zero 0
	.end_amdhsa_kernel
	.section	.text._ZN8rajaperf9polybench9poly_adi2ILm256EEEvldddddPdS2_S2_S2_,"axG",@progbits,_ZN8rajaperf9polybench9poly_adi2ILm256EEEvldddddPdS2_S2_S2_,comdat
.Lfunc_end1:
	.size	_ZN8rajaperf9polybench9poly_adi2ILm256EEEvldddddPdS2_S2_S2_, .Lfunc_end1-_ZN8rajaperf9polybench9poly_adi2ILm256EEEvldddddPdS2_S2_S2_
                                        ; -- End function
	.set _ZN8rajaperf9polybench9poly_adi2ILm256EEEvldddddPdS2_S2_S2_.num_vgpr, 32
	.set _ZN8rajaperf9polybench9poly_adi2ILm256EEEvldddddPdS2_S2_S2_.num_agpr, 0
	.set _ZN8rajaperf9polybench9poly_adi2ILm256EEEvldddddPdS2_S2_S2_.numbered_sgpr, 36
	.set _ZN8rajaperf9polybench9poly_adi2ILm256EEEvldddddPdS2_S2_S2_.num_named_barrier, 0
	.set _ZN8rajaperf9polybench9poly_adi2ILm256EEEvldddddPdS2_S2_S2_.private_seg_size, 0
	.set _ZN8rajaperf9polybench9poly_adi2ILm256EEEvldddddPdS2_S2_S2_.uses_vcc, 1
	.set _ZN8rajaperf9polybench9poly_adi2ILm256EEEvldddddPdS2_S2_S2_.uses_flat_scratch, 0
	.set _ZN8rajaperf9polybench9poly_adi2ILm256EEEvldddddPdS2_S2_S2_.has_dyn_sized_stack, 0
	.set _ZN8rajaperf9polybench9poly_adi2ILm256EEEvldddddPdS2_S2_S2_.has_recursion, 0
	.set _ZN8rajaperf9polybench9poly_adi2ILm256EEEvldddddPdS2_S2_S2_.has_indirect_call, 0
	.section	.AMDGPU.csdata,"",@progbits
; Kernel info:
; codeLenInByte = 1960
; TotalNumSgprs: 38
; NumVgprs: 32
; ScratchSize: 0
; MemoryBound: 0
; FloatMode: 240
; IeeeMode: 1
; LDSByteSize: 0 bytes/workgroup (compile time only)
; SGPRBlocks: 0
; VGPRBlocks: 1
; NumSGPRsForWavesPerEU: 38
; NumVGPRsForWavesPerEU: 32
; NamedBarCnt: 0
; Occupancy: 16
; WaveLimiterHint : 0
; COMPUTE_PGM_RSRC2:SCRATCH_EN: 0
; COMPUTE_PGM_RSRC2:USER_SGPR: 2
; COMPUTE_PGM_RSRC2:TRAP_HANDLER: 0
; COMPUTE_PGM_RSRC2:TGID_X_EN: 1
; COMPUTE_PGM_RSRC2:TGID_Y_EN: 0
; COMPUTE_PGM_RSRC2:TGID_Z_EN: 0
; COMPUTE_PGM_RSRC2:TIDIG_COMP_CNT: 0
	.section	.text._ZN8rajaperf9polybench12poly_adi_lamILm256EZNS0_13POLYBENCH_ADI17runHipVariantImplILm256EEEvNS_9VariantIDEEUllE_EEvlT0_,"axG",@progbits,_ZN8rajaperf9polybench12poly_adi_lamILm256EZNS0_13POLYBENCH_ADI17runHipVariantImplILm256EEEvNS_9VariantIDEEUllE_EEvlT0_,comdat
	.protected	_ZN8rajaperf9polybench12poly_adi_lamILm256EZNS0_13POLYBENCH_ADI17runHipVariantImplILm256EEEvNS_9VariantIDEEUllE_EEvlT0_ ; -- Begin function _ZN8rajaperf9polybench12poly_adi_lamILm256EZNS0_13POLYBENCH_ADI17runHipVariantImplILm256EEEvNS_9VariantIDEEUllE_EEvlT0_
	.globl	_ZN8rajaperf9polybench12poly_adi_lamILm256EZNS0_13POLYBENCH_ADI17runHipVariantImplILm256EEEvNS_9VariantIDEEUllE_EEvlT0_
	.p2align	8
	.type	_ZN8rajaperf9polybench12poly_adi_lamILm256EZNS0_13POLYBENCH_ADI17runHipVariantImplILm256EEEvNS_9VariantIDEEUllE_EEvlT0_,@function
_ZN8rajaperf9polybench12poly_adi_lamILm256EZNS0_13POLYBENCH_ADI17runHipVariantImplILm256EEEvNS_9VariantIDEEUllE_EEvlT0_: ; @_ZN8rajaperf9polybench12poly_adi_lamILm256EZNS0_13POLYBENCH_ADI17runHipVariantImplILm256EEEvNS_9VariantIDEEUllE_EEvlT0_
; %bb.0:
	s_load_b512 s[4:19], s[0:1], 0x0
	s_bfe_u32 s2, ttmp6, 0x4000c
	v_dual_mov_b32 v1, 0 :: v_dual_add_nc_u32 v2, 1, v0
	s_add_co_i32 s2, s2, 1
	s_and_b32 s20, ttmp6, 15
	s_mul_i32 s2, ttmp9, s2
	s_getreg_b32 s21, hwreg(HW_REG_IB_STS2, 6, 4)
	s_add_co_i32 s20, s20, s2
	s_cmp_eq_u32 s21, 0
	v_mov_b32_e32 v3, v1
	s_mov_b32 s3, 0
	s_cselect_b32 s2, ttmp9, s20
	s_delay_alu instid0(SALU_CYCLE_1)
	s_lshl_b64 s[20:21], s[2:3], 8
	s_delay_alu instid0(VALU_DEP_1) | instid1(SALU_CYCLE_1)
	v_add_nc_u64_e32 v[2:3], s[20:21], v[2:3]
	s_wait_kmcnt 0x0
	s_add_nc_u64 s[4:5], s[4:5], -1
	s_delay_alu instid0(VALU_DEP_1) | instid1(SALU_CYCLE_1)
	v_cmp_gt_i64_e32 vcc_lo, s[4:5], v[2:3]
	s_and_saveexec_b32 s4, vcc_lo
	s_cbranch_execz .LBB2_14
; %bb.1:
	v_mul_u64_e32 v[2:3], s[8:9], v[2:3]
	v_mov_b64_e32 v[4:5], 1.0
	v_mov_b64_e32 v[6:7], 0
	v_cmp_lt_i64_e64 s5, s[8:9], 3
	s_add_nc_u64 s[24:25], s[8:9], -1
	s_mov_b32 s4, -1
	s_mul_u64 s[26:27], s[24:25], s[8:9]
	s_and_b32 vcc_lo, exec_lo, s5
	v_lshlrev_b64_e32 v[8:9], 3, v[2:3]
	v_add_nc_u64_e32 v[2:3], s[20:21], v[0:1]
	s_delay_alu instid0(VALU_DEP_2) | instskip(NEXT) | instid1(VALU_DEP_2)
	v_add_nc_u64_e32 v[10:11], s[10:11], v[8:9]
	v_lshl_add_u64 v[12:13], v[2:3], 3, s[6:7]
	v_add_nc_u64_e32 v[14:15], s[12:13], v[8:9]
	global_store_b64 v[12:13], v[4:5], off offset:8
	global_store_b64 v[10:11], v[6:7], off
	global_load_b64 v[6:7], v[12:13], off offset:8
	s_wait_loadcnt 0x0
	global_store_b64 v[14:15], v[6:7], off
	s_cbranch_vccz .LBB2_3
; %bb.2:
	s_lshl_b64 s[4:5], s[26:27], 3
	s_delay_alu instid0(SALU_CYCLE_1)
	s_add_nc_u64 s[4:5], s[6:7], s[4:5]
	s_wait_xcnt 0x0
	v_lshl_add_u64 v[6:7], v[2:3], 3, s[4:5]
	s_mov_b32 s4, 0
	global_store_b64 v[6:7], v[4:5], off offset:8
.LBB2_3:
	s_and_not1_b32 vcc_lo, exec_lo, s4
	s_cbranch_vccnz .LBB2_14
; %bb.4:
	s_lshl_b64 s[30:31], s[2:3], 11
	s_wait_xcnt 0x0
	v_dual_mov_b32 v7, s31 :: v_dual_lshlrev_b32 v4, 3, v0
	s_add_nc_u64 s[40:41], s[8:9], -3
	s_clause 0x1
	s_load_b128 s[20:23], s[0:1], 0x40
	s_load_b64 s[34:35], s[0:1], 0x50
	v_dual_mov_b32 v5, 0 :: v_dual_bitop2_b32 v6, s30, v4 bitop3:0x54
	s_wait_xcnt 0x0
	s_lshl_b64 s[0:1], s[40:41], 3
	v_add_nc_u64_e32 v[12:13], 8, v[10:11]
	v_add_nc_u64_e32 v[20:21], s[0:1], v[10:11]
	;; [unrolled: 1-line block ×5, first 2 shown]
	s_mov_b64 s[0:1], 0x1fffffffffffffff
	s_lshl_b64 s[36:37], s[8:9], 3
	v_cmp_gt_u64_e64 s5, s[40:41], s[0:1]
	v_cmp_lt_i64_e64 vcc_lo, s[36:37], 0
	v_add_nc_u64_e32 v[26:27], 8, v[22:23]
	v_mul_lo_u32 v1, s8, v7
	v_mul_lo_u32 v24, s9, v6
	v_mad_nc_u64_u32 v[18:19], s8, v6, s[12:13]
	v_mad_nc_u64_u32 v[6:7], s8, v6, s[10:11]
	s_sub_nc_u64 s[28:29], 0, s[36:37]
	s_wait_kmcnt 0x0
	s_add_nc_u64 s[42:43], s[22:23], s[30:31]
	v_cmp_lt_u64_e64 s1, v[26:27], v[16:17]
	s_add_nc_u64 s[42:43], s[42:43], s[36:37]
	v_cmp_lt_u64_e64 s4, v[20:21], v[10:11]
	s_mov_b32 s39, 0
	v_add3_u32 v19, v24, v19, v1
	v_add3_u32 v7, v24, v7, v1
	v_add_nc_u64_e32 v[24:25], 8, v[20:21]
	s_delay_alu instid0(VALU_DEP_3) | instskip(NEXT) | instid1(VALU_DEP_3)
	v_add_nc_u64_e32 v[18:19], -8, v[18:19]
	v_add_nc_u64_e32 v[6:7], -8, v[6:7]
	s_delay_alu instid0(VALU_DEP_3) | instskip(NEXT) | instid1(VALU_DEP_3)
	v_cmp_lt_u64_e64 s0, v[24:25], v[12:13]
	v_cmp_lt_u64_e64 s2, v[10:11], v[18:19]
	s_delay_alu instid0(VALU_DEP_3)
	v_cmp_lt_u64_e64 s3, v[14:15], v[6:7]
	v_add_nc_u64_e32 v[18:19], s[42:43], v[4:5]
	v_fma_f64 v[6:7], s[20:21], 2.0, 1.0
	s_or_b32 s33, s1, s0
	s_and_b32 s46, s2, s3
	s_and_b32 s0, vcc_lo, exec_lo
	s_cselect_b32 s1, s29, s37
	s_cselect_b32 s0, s28, s36
	s_mul_i32 s48, s1, s40
	s_mul_u64 s[42:43], s[0:1], s[40:41]
	s_mul_hi_u32 s3, s0, s41
	v_add_nc_u64_e32 v[20:21], s[42:43], v[18:19]
	s_mul_i32 s2, s0, s41
	s_mul_hi_u32 s38, s0, s40
	s_mul_hi_u32 s47, s1, s40
	s_add_nc_u64 s[2:3], s[38:39], s[2:3]
	s_sub_nc_u64 s[44:45], 0, s[42:43]
	s_mul_hi_u32 s0, s1, s41
	s_add_co_u32 s2, s2, s48
	s_add_co_ci_u32 s38, s3, s47
	v_add_nc_u64_e32 v[24:25], s[44:45], v[18:19]
	s_add_co_ci_u32 s3, s0, 0
	v_cmp_lt_u64_e64 s0, v[20:21], v[18:19]
	v_add_nc_u64_e32 v[26:27], 8, v[18:19]
	v_add_nc_u64_e32 v[28:29], 8, v[20:21]
	;; [unrolled: 1-line block ×3, first 2 shown]
	s_mul_i32 s2, s1, s41
	v_add_nc_u64_e32 v[30:31], 8, v[24:25]
	v_cndmask_b32_e64 v1, 0, 1, s0
	v_cmp_gt_u64_e64 s0, v[24:25], v[18:19]
	v_add_nc_u64_e32 v[18:19], 16, v[18:19]
	v_add_nc_u64_e32 v[24:25], 16, v[24:25]
	s_delay_alu instid0(VALU_DEP_3) | instskip(SKIP_1) | instid1(VALU_DEP_2)
	v_cndmask_b32_e64 v4, 0, 1, s0
	v_cmp_lt_u64_e64 s0, v[28:29], v[26:27]
	v_cndmask_b32_e32 v1, v1, v4, vcc_lo
	s_delay_alu instid0(VALU_DEP_2) | instskip(SKIP_1) | instid1(VALU_DEP_1)
	v_cndmask_b32_e64 v4, 0, 1, s0
	v_cmp_gt_u64_e64 s0, v[30:31], v[26:27]
	v_cndmask_b32_e64 v26, 0, 1, s0
	v_cmp_lt_u64_e64 s0, v[20:21], v[18:19]
	s_delay_alu instid0(VALU_DEP_2) | instskip(NEXT) | instid1(VALU_DEP_2)
	v_cndmask_b32_e32 v4, v4, v26, vcc_lo
	v_cndmask_b32_e64 v20, 0, 1, s0
	v_cmp_gt_u64_e64 s0, v[24:25], v[18:19]
	s_delay_alu instid0(VALU_DEP_3) | instskip(NEXT) | instid1(VALU_DEP_2)
	v_and_b32_e32 v4, 1, v4
	v_cndmask_b32_e64 v18, 0, 1, s0
	s_add_nc_u64 s[0:1], s[38:39], s[2:3]
	v_and_b32_e32 v1, 1, v1
	s_and_b64 s[2:3], s[0:1], 0xffffffff00000000
	s_delay_alu instid0(VALU_DEP_2) | instskip(SKIP_1) | instid1(VALU_DEP_2)
	v_cndmask_b32_e32 v18, v20, v18, vcc_lo
	s_or_b32 s2, s2, s0
	v_cmp_eq_u32_e32 vcc_lo, 1, v1
	s_cmp_lg_u64 s[2:3], 0
	v_cmp_eq_u32_e64 s0, 1, v4
	v_dual_lshlrev_b32 v4, 3, v0 :: v_dual_bitop2_b32 v1, 1, v18 bitop3:0x40
	s_cselect_b32 s1, -1, 0
	s_or_b32 s3, s33, s5
	s_or_b32 s2, vcc_lo, s1
	s_delay_alu instid0(VALU_DEP_1)
	v_cmp_eq_u32_e32 vcc_lo, 1, v1
	s_or_b32 s3, s4, s3
	s_or_b32 s5, s0, s1
	v_cmp_lt_u64_e64 s0, v[22:23], v[14:15]
	s_or_b32 s2, s3, s2
	s_or_b32 s1, vcc_lo, s1
	s_or_b32 s2, s2, s5
                                        ; implicit-def: $sgpr4_sgpr5
	s_delay_alu instid0(SALU_CYCLE_1)
	s_or_b32 s1, s2, s1
	s_add_nc_u64 s[2:3], s[30:31], s[36:37]
	s_or_b32 s0, s0, s1
	s_add_nc_u64 s[2:3], s[22:23], s[2:3]
	s_nor_b32 s33, s46, s0
	s_add_nc_u64 s[0:1], s[8:9], -2
	s_and_saveexec_b32 s22, s33
	s_delay_alu instid0(SALU_CYCLE_1)
	s_xor_b32 s33, exec_lo, s22
	s_cbranch_execz .LBB2_8
; %bb.5:
	global_load_b64 v[8:9], v[10:11], off
	global_load_b64 v[18:19], v[14:15], off
	v_add_nc_u64_e32 v[0:1], s[2:3], v[4:5]
	s_add_nc_u64 s[4:5], s[8:9], -2
	s_delay_alu instid0(SALU_CYCLE_1) | instskip(NEXT) | instid1(VALU_DEP_1)
	s_mov_b64 s[22:23], s[4:5]
	v_add_nc_u64_e32 v[0:1], 16, v[0:1]
.LBB2_6:                                ; =>This Inner Loop Header: Depth=1
	s_wait_loadcnt 0x1
	s_wait_xcnt 0x1
	v_fma_f64 v[10:11], s[16:17], v[8:9], s[18:19]
	s_add_nc_u64 s[22:23], s[22:23], -1
	s_delay_alu instid0(SALU_CYCLE_1) | instskip(NEXT) | instid1(VALU_DEP_1)
	s_cmp_eq_u64 s[22:23], 0
	v_div_scale_f64 v[8:9], null, v[10:11], v[10:11], -s[14:15]
	v_div_scale_f64 v[22:23], vcc_lo, -s[14:15], v[10:11], -s[14:15]
	s_wait_xcnt 0x0
	s_delay_alu instid0(VALU_DEP_2) | instskip(SKIP_1) | instid1(TRANS32_DEP_1)
	v_rcp_f64_e32 v[14:15], v[8:9]
	v_nop
	v_fma_f64 v[20:21], -v[8:9], v[14:15], 1.0
	s_delay_alu instid0(VALU_DEP_1) | instskip(NEXT) | instid1(VALU_DEP_1)
	v_fmac_f64_e32 v[14:15], v[14:15], v[20:21]
	v_fma_f64 v[20:21], -v[8:9], v[14:15], 1.0
	s_delay_alu instid0(VALU_DEP_1) | instskip(NEXT) | instid1(VALU_DEP_1)
	v_fmac_f64_e32 v[14:15], v[14:15], v[20:21]
	v_mul_f64_e32 v[20:21], v[22:23], v[14:15]
	s_delay_alu instid0(VALU_DEP_1) | instskip(NEXT) | instid1(VALU_DEP_1)
	v_fma_f64 v[8:9], -v[8:9], v[20:21], v[22:23]
	v_div_fmas_f64 v[8:9], v[8:9], v[14:15], v[20:21]
	s_delay_alu instid0(VALU_DEP_1)
	v_div_fixup_f64 v[8:9], v[8:9], v[10:11], -s[14:15]
	global_store_b64 v[12:13], v[8:9], off
	s_clause 0x1
	global_load_b128 v[20:23], v[0:1], off offset:-16
	global_load_b64 v[14:15], v[0:1], off
	s_wait_xcnt 0x2
	v_add_nc_u64_e32 v[12:13], 8, v[12:13]
	s_wait_xcnt 0x0
	v_add_nc_u64_e32 v[0:1], s[36:37], v[0:1]
	s_wait_loadcnt 0x1
	v_mul_f64_e32 v[20:21], s[20:21], v[20:21]
	s_delay_alu instid0(VALU_DEP_1) | instskip(SKIP_1) | instid1(VALU_DEP_1)
	v_fma_f64 v[20:21], v[6:7], v[22:23], -v[20:21]
	s_wait_loadcnt 0x0
	v_fma_f64 v[14:15], -s[34:35], v[14:15], v[20:21]
	s_delay_alu instid0(VALU_DEP_1) | instskip(NEXT) | instid1(VALU_DEP_1)
	v_fma_f64 v[14:15], -s[16:17], v[18:19], v[14:15]
	v_div_scale_f64 v[18:19], null, v[10:11], v[10:11], v[14:15]
	v_div_scale_f64 v[24:25], vcc_lo, v[14:15], v[10:11], v[14:15]
	s_delay_alu instid0(VALU_DEP_2) | instskip(SKIP_1) | instid1(TRANS32_DEP_1)
	v_rcp_f64_e32 v[20:21], v[18:19]
	v_nop
	v_fma_f64 v[22:23], -v[18:19], v[20:21], 1.0
	s_delay_alu instid0(VALU_DEP_1) | instskip(NEXT) | instid1(VALU_DEP_1)
	v_fmac_f64_e32 v[20:21], v[20:21], v[22:23]
	v_fma_f64 v[22:23], -v[18:19], v[20:21], 1.0
	s_delay_alu instid0(VALU_DEP_1) | instskip(NEXT) | instid1(VALU_DEP_1)
	v_fmac_f64_e32 v[20:21], v[20:21], v[22:23]
	v_mul_f64_e32 v[22:23], v[24:25], v[20:21]
	s_delay_alu instid0(VALU_DEP_1) | instskip(NEXT) | instid1(VALU_DEP_1)
	v_fma_f64 v[18:19], -v[18:19], v[22:23], v[24:25]
	v_div_fmas_f64 v[18:19], v[18:19], v[20:21], v[22:23]
	s_delay_alu instid0(VALU_DEP_1)
	v_div_fixup_f64 v[18:19], v[18:19], v[10:11], v[14:15]
	global_store_b64 v[16:17], v[18:19], off
	s_wait_xcnt 0x0
	v_add_nc_u64_e32 v[16:17], 8, v[16:17]
	s_cbranch_scc0 .LBB2_6
; %bb.7:
                                        ; implicit-def: $vgpr6_vgpr7
                                        ; implicit-def: $vgpr8_vgpr9
.LBB2_8:
	s_or_saveexec_b32 s22, s33
	v_mov_b64_e32 v[0:1], s[4:5]
	s_xor_b32 exec_lo, exec_lo, s22
	s_cbranch_execz .LBB2_12
; %bb.9:
	v_mov_b32_e32 v5, 0
	v_add_nc_u64_e32 v[10:11], 8, v[8:9]
	s_delay_alu instid0(VALU_DEP_2) | instskip(SKIP_1) | instid1(VALU_DEP_2)
	v_add_nc_u64_e32 v[8:9], s[2:3], v[4:5]
	s_mov_b64 s[2:3], s[0:1]
	v_add_nc_u64_e32 v[0:1], s[12:13], v[10:11]
	v_add_nc_u64_e32 v[10:11], s[10:11], v[10:11]
	s_delay_alu instid0(VALU_DEP_3)
	v_add_nc_u64_e32 v[8:9], 16, v[8:9]
.LBB2_10:                               ; =>This Inner Loop Header: Depth=1
	global_load_b64 v[12:13], v[10:11], off offset:-8
	s_add_nc_u64 s[2:3], s[2:3], -1
	s_delay_alu instid0(SALU_CYCLE_1) | instskip(SKIP_2) | instid1(VALU_DEP_1)
	s_cmp_eq_u64 s[2:3], 0
	s_wait_loadcnt 0x0
	v_fma_f64 v[16:17], s[16:17], v[12:13], s[18:19]
	v_div_scale_f64 v[12:13], null, v[16:17], v[16:17], -s[14:15]
	v_div_scale_f64 v[20:21], vcc_lo, -s[14:15], v[16:17], -s[14:15]
	s_delay_alu instid0(VALU_DEP_2) | instskip(SKIP_1) | instid1(TRANS32_DEP_1)
	v_rcp_f64_e32 v[14:15], v[12:13]
	v_nop
	v_fma_f64 v[18:19], -v[12:13], v[14:15], 1.0
	s_delay_alu instid0(VALU_DEP_1) | instskip(NEXT) | instid1(VALU_DEP_1)
	v_fmac_f64_e32 v[14:15], v[14:15], v[18:19]
	v_fma_f64 v[18:19], -v[12:13], v[14:15], 1.0
	s_delay_alu instid0(VALU_DEP_1) | instskip(NEXT) | instid1(VALU_DEP_1)
	v_fmac_f64_e32 v[14:15], v[14:15], v[18:19]
	v_mul_f64_e32 v[18:19], v[20:21], v[14:15]
	s_delay_alu instid0(VALU_DEP_1) | instskip(NEXT) | instid1(VALU_DEP_1)
	v_fma_f64 v[12:13], -v[12:13], v[18:19], v[20:21]
	v_div_fmas_f64 v[12:13], v[12:13], v[14:15], v[18:19]
	s_delay_alu instid0(VALU_DEP_1)
	v_div_fixup_f64 v[12:13], v[12:13], v[16:17], -s[14:15]
	global_store_b64 v[10:11], v[12:13], off
	s_clause 0x1
	global_load_b128 v[12:15], v[8:9], off offset:-16
	global_load_b64 v[18:19], v[8:9], off
	global_load_b64 v[20:21], v[0:1], off offset:-8
	v_add_nc_u64_e32 v[10:11], 8, v[10:11]
	s_wait_xcnt 0x1
	v_add_nc_u64_e32 v[8:9], s[36:37], v[8:9]
	s_wait_loadcnt 0x2
	v_mul_f64_e32 v[12:13], s[20:21], v[12:13]
	s_delay_alu instid0(VALU_DEP_1) | instskip(SKIP_1) | instid1(VALU_DEP_1)
	v_fma_f64 v[12:13], v[6:7], v[14:15], -v[12:13]
	s_wait_loadcnt 0x1
	v_fma_f64 v[12:13], -s[34:35], v[18:19], v[12:13]
	s_wait_loadcnt 0x0
	s_delay_alu instid0(VALU_DEP_1) | instskip(NEXT) | instid1(VALU_DEP_1)
	v_fma_f64 v[12:13], -s[16:17], v[20:21], v[12:13]
	v_div_scale_f64 v[14:15], null, v[16:17], v[16:17], v[12:13]
	v_div_scale_f64 v[22:23], vcc_lo, v[12:13], v[16:17], v[12:13]
	s_delay_alu instid0(VALU_DEP_2) | instskip(SKIP_1) | instid1(TRANS32_DEP_1)
	v_rcp_f64_e32 v[18:19], v[14:15]
	v_nop
	v_fma_f64 v[20:21], -v[14:15], v[18:19], 1.0
	s_delay_alu instid0(VALU_DEP_1) | instskip(NEXT) | instid1(VALU_DEP_1)
	v_fmac_f64_e32 v[18:19], v[18:19], v[20:21]
	v_fma_f64 v[20:21], -v[14:15], v[18:19], 1.0
	s_delay_alu instid0(VALU_DEP_1) | instskip(NEXT) | instid1(VALU_DEP_1)
	v_fmac_f64_e32 v[18:19], v[18:19], v[20:21]
	v_mul_f64_e32 v[20:21], v[22:23], v[18:19]
	s_delay_alu instid0(VALU_DEP_1) | instskip(NEXT) | instid1(VALU_DEP_1)
	v_fma_f64 v[14:15], -v[14:15], v[20:21], v[22:23]
	v_div_fmas_f64 v[14:15], v[14:15], v[18:19], v[20:21]
	s_delay_alu instid0(VALU_DEP_1)
	v_div_fixup_f64 v[12:13], v[14:15], v[16:17], v[12:13]
	global_store_b64 v[0:1], v[12:13], off
	s_wait_xcnt 0x0
	v_add_nc_u64_e32 v[0:1], 8, v[0:1]
	s_cbranch_scc0 .LBB2_10
; %bb.11:
	v_mov_b64_e32 v[0:1], s[0:1]
.LBB2_12:
	s_or_b32 exec_lo, exec_lo, s22
	v_add_nc_u64_e32 v[4:5], s[30:31], v[4:5]
	s_delay_alu instid0(VALU_DEP_2) | instskip(SKIP_3) | instid1(SALU_CYCLE_1)
	v_mul_u64_e32 v[0:1], s[8:9], v[0:1]
	s_lshl_b64 s[0:1], s[26:27], 3
	v_mov_b64_e32 v[12:13], 1.0
	s_add_nc_u64 s[2:3], s[6:7], s[0:1]
	v_lshl_add_u64 v[2:3], v[2:3], 3, s[2:3]
	s_delay_alu instid0(VALU_DEP_4) | instskip(SKIP_3) | instid1(VALU_DEP_1)
	v_add_nc_u64_e32 v[6:7], 16, v[4:5]
	v_add_nc_u64_e32 v[10:11], s[6:7], v[4:5]
	global_store_b64 v[2:3], v[12:13], off offset:8
	v_mad_nc_u64_u32 v[8:9], s8, v6, -16
	v_mad_u32 v6, s9, v6, v9
	v_lshlrev_b64_e32 v[0:1], 3, v[0:1]
	s_delay_alu instid0(VALU_DEP_2) | instskip(NEXT) | instid1(VALU_DEP_1)
	v_mad_u32 v9, s8, v7, v6
	v_add_nc_u64_e32 v[4:5], s[12:13], v[8:9]
	v_add_nc_u64_e32 v[6:7], s[10:11], v[8:9]
	;; [unrolled: 1-line block ×3, first 2 shown]
.LBB2_13:                               ; =>This Inner Loop Header: Depth=1
	s_wait_xcnt 0x0
	s_delay_alu instid0(VALU_DEP_1)
	v_add_nc_u64_e32 v[2:3], s[0:1], v[8:9]
	s_add_nc_u64 s[24:25], s[24:25], -1
	global_load_b64 v[10:11], v[6:7], off
	global_load_b64 v[12:13], v[4:5], off
	;; [unrolled: 1-line block ×3, first 2 shown]
	v_cmp_gt_u64_e64 s2, s[24:25], 1
	s_wait_xcnt 0x0
	v_add_nc_u64_e32 v[2:3], v[8:9], v[0:1]
	v_add_nc_u64_e32 v[4:5], -8, v[4:5]
	v_add_nc_u64_e32 v[6:7], -8, v[6:7]
	v_add_nc_u64_e32 v[8:9], s[28:29], v[8:9]
	s_and_b32 vcc_lo, exec_lo, s2
	s_wait_loadcnt 0x0
	v_fmac_f64_e32 v[12:13], v[10:11], v[14:15]
	global_store_b64 v[2:3], v[12:13], off
	s_cbranch_vccnz .LBB2_13
.LBB2_14:
	s_endpgm
	.section	.rodata,"a",@progbits
	.p2align	6, 0x0
	.amdhsa_kernel _ZN8rajaperf9polybench12poly_adi_lamILm256EZNS0_13POLYBENCH_ADI17runHipVariantImplILm256EEEvNS_9VariantIDEEUllE_EEvlT0_
		.amdhsa_group_segment_fixed_size 0
		.amdhsa_private_segment_fixed_size 0
		.amdhsa_kernarg_size 88
		.amdhsa_user_sgpr_count 2
		.amdhsa_user_sgpr_dispatch_ptr 0
		.amdhsa_user_sgpr_queue_ptr 0
		.amdhsa_user_sgpr_kernarg_segment_ptr 1
		.amdhsa_user_sgpr_dispatch_id 0
		.amdhsa_user_sgpr_kernarg_preload_length 0
		.amdhsa_user_sgpr_kernarg_preload_offset 0
		.amdhsa_user_sgpr_private_segment_size 0
		.amdhsa_wavefront_size32 1
		.amdhsa_uses_dynamic_stack 0
		.amdhsa_enable_private_segment 0
		.amdhsa_system_sgpr_workgroup_id_x 1
		.amdhsa_system_sgpr_workgroup_id_y 0
		.amdhsa_system_sgpr_workgroup_id_z 0
		.amdhsa_system_sgpr_workgroup_info 0
		.amdhsa_system_vgpr_workitem_id 0
		.amdhsa_next_free_vgpr 32
		.amdhsa_next_free_sgpr 49
		.amdhsa_named_barrier_count 0
		.amdhsa_reserve_vcc 1
		.amdhsa_float_round_mode_32 0
		.amdhsa_float_round_mode_16_64 0
		.amdhsa_float_denorm_mode_32 3
		.amdhsa_float_denorm_mode_16_64 3
		.amdhsa_fp16_overflow 0
		.amdhsa_memory_ordered 1
		.amdhsa_forward_progress 1
		.amdhsa_inst_pref_size 16
		.amdhsa_round_robin_scheduling 0
		.amdhsa_exception_fp_ieee_invalid_op 0
		.amdhsa_exception_fp_denorm_src 0
		.amdhsa_exception_fp_ieee_div_zero 0
		.amdhsa_exception_fp_ieee_overflow 0
		.amdhsa_exception_fp_ieee_underflow 0
		.amdhsa_exception_fp_ieee_inexact 0
		.amdhsa_exception_int_div_zero 0
	.end_amdhsa_kernel
	.section	.text._ZN8rajaperf9polybench12poly_adi_lamILm256EZNS0_13POLYBENCH_ADI17runHipVariantImplILm256EEEvNS_9VariantIDEEUllE_EEvlT0_,"axG",@progbits,_ZN8rajaperf9polybench12poly_adi_lamILm256EZNS0_13POLYBENCH_ADI17runHipVariantImplILm256EEEvNS_9VariantIDEEUllE_EEvlT0_,comdat
.Lfunc_end2:
	.size	_ZN8rajaperf9polybench12poly_adi_lamILm256EZNS0_13POLYBENCH_ADI17runHipVariantImplILm256EEEvNS_9VariantIDEEUllE_EEvlT0_, .Lfunc_end2-_ZN8rajaperf9polybench12poly_adi_lamILm256EZNS0_13POLYBENCH_ADI17runHipVariantImplILm256EEEvNS_9VariantIDEEUllE_EEvlT0_
                                        ; -- End function
	.set _ZN8rajaperf9polybench12poly_adi_lamILm256EZNS0_13POLYBENCH_ADI17runHipVariantImplILm256EEEvNS_9VariantIDEEUllE_EEvlT0_.num_vgpr, 32
	.set _ZN8rajaperf9polybench12poly_adi_lamILm256EZNS0_13POLYBENCH_ADI17runHipVariantImplILm256EEEvNS_9VariantIDEEUllE_EEvlT0_.num_agpr, 0
	.set _ZN8rajaperf9polybench12poly_adi_lamILm256EZNS0_13POLYBENCH_ADI17runHipVariantImplILm256EEEvNS_9VariantIDEEUllE_EEvlT0_.numbered_sgpr, 49
	.set _ZN8rajaperf9polybench12poly_adi_lamILm256EZNS0_13POLYBENCH_ADI17runHipVariantImplILm256EEEvNS_9VariantIDEEUllE_EEvlT0_.num_named_barrier, 0
	.set _ZN8rajaperf9polybench12poly_adi_lamILm256EZNS0_13POLYBENCH_ADI17runHipVariantImplILm256EEEvNS_9VariantIDEEUllE_EEvlT0_.private_seg_size, 0
	.set _ZN8rajaperf9polybench12poly_adi_lamILm256EZNS0_13POLYBENCH_ADI17runHipVariantImplILm256EEEvNS_9VariantIDEEUllE_EEvlT0_.uses_vcc, 1
	.set _ZN8rajaperf9polybench12poly_adi_lamILm256EZNS0_13POLYBENCH_ADI17runHipVariantImplILm256EEEvNS_9VariantIDEEUllE_EEvlT0_.uses_flat_scratch, 0
	.set _ZN8rajaperf9polybench12poly_adi_lamILm256EZNS0_13POLYBENCH_ADI17runHipVariantImplILm256EEEvNS_9VariantIDEEUllE_EEvlT0_.has_dyn_sized_stack, 0
	.set _ZN8rajaperf9polybench12poly_adi_lamILm256EZNS0_13POLYBENCH_ADI17runHipVariantImplILm256EEEvNS_9VariantIDEEUllE_EEvlT0_.has_recursion, 0
	.set _ZN8rajaperf9polybench12poly_adi_lamILm256EZNS0_13POLYBENCH_ADI17runHipVariantImplILm256EEEvNS_9VariantIDEEUllE_EEvlT0_.has_indirect_call, 0
	.section	.AMDGPU.csdata,"",@progbits
; Kernel info:
; codeLenInByte = 1936
; TotalNumSgprs: 51
; NumVgprs: 32
; ScratchSize: 0
; MemoryBound: 0
; FloatMode: 240
; IeeeMode: 1
; LDSByteSize: 0 bytes/workgroup (compile time only)
; SGPRBlocks: 0
; VGPRBlocks: 1
; NumSGPRsForWavesPerEU: 51
; NumVGPRsForWavesPerEU: 32
; NamedBarCnt: 0
; Occupancy: 16
; WaveLimiterHint : 0
; COMPUTE_PGM_RSRC2:SCRATCH_EN: 0
; COMPUTE_PGM_RSRC2:USER_SGPR: 2
; COMPUTE_PGM_RSRC2:TRAP_HANDLER: 0
; COMPUTE_PGM_RSRC2:TGID_X_EN: 1
; COMPUTE_PGM_RSRC2:TGID_Y_EN: 0
; COMPUTE_PGM_RSRC2:TGID_Z_EN: 0
; COMPUTE_PGM_RSRC2:TIDIG_COMP_CNT: 0
	.section	.text._ZN8rajaperf9polybench12poly_adi_lamILm256EZNS0_13POLYBENCH_ADI17runHipVariantImplILm256EEEvNS_9VariantIDEEUllE0_EEvlT0_,"axG",@progbits,_ZN8rajaperf9polybench12poly_adi_lamILm256EZNS0_13POLYBENCH_ADI17runHipVariantImplILm256EEEvNS_9VariantIDEEUllE0_EEvlT0_,comdat
	.protected	_ZN8rajaperf9polybench12poly_adi_lamILm256EZNS0_13POLYBENCH_ADI17runHipVariantImplILm256EEEvNS_9VariantIDEEUllE0_EEvlT0_ ; -- Begin function _ZN8rajaperf9polybench12poly_adi_lamILm256EZNS0_13POLYBENCH_ADI17runHipVariantImplILm256EEEvNS_9VariantIDEEUllE0_EEvlT0_
	.globl	_ZN8rajaperf9polybench12poly_adi_lamILm256EZNS0_13POLYBENCH_ADI17runHipVariantImplILm256EEEvNS_9VariantIDEEUllE0_EEvlT0_
	.p2align	8
	.type	_ZN8rajaperf9polybench12poly_adi_lamILm256EZNS0_13POLYBENCH_ADI17runHipVariantImplILm256EEEvNS_9VariantIDEEUllE0_EEvlT0_,@function
_ZN8rajaperf9polybench12poly_adi_lamILm256EZNS0_13POLYBENCH_ADI17runHipVariantImplILm256EEEvNS_9VariantIDEEUllE0_EEvlT0_: ; @_ZN8rajaperf9polybench12poly_adi_lamILm256EZNS0_13POLYBENCH_ADI17runHipVariantImplILm256EEEvNS_9VariantIDEEUllE0_EEvlT0_
; %bb.0:
	s_load_b512 s[4:19], s[0:1], 0x0
	s_bfe_u32 s2, ttmp6, 0x4000c
	s_and_b32 s3, ttmp6, 15
	s_add_co_i32 s2, s2, 1
	s_getreg_b32 s20, hwreg(HW_REG_IB_STS2, 6, 4)
	s_mul_i32 s2, ttmp9, s2
	v_dual_mov_b32 v3, 0 :: v_dual_add_nc_u32 v2, 1, v0
	s_add_co_i32 s3, s3, s2
	s_cmp_eq_u32 s20, 0
	s_mov_b32 s25, 0
	s_cselect_b32 s24, ttmp9, s3
	s_delay_alu instid0(SALU_CYCLE_1) | instskip(NEXT) | instid1(SALU_CYCLE_1)
	s_lshl_b64 s[26:27], s[24:25], 8
	v_add_nc_u64_e32 v[8:9], s[26:27], v[2:3]
	s_wait_kmcnt 0x0
	s_add_nc_u64 s[2:3], s[4:5], -1
	s_delay_alu instid0(VALU_DEP_1) | instid1(SALU_CYCLE_1)
	v_cmp_gt_i64_e32 vcc_lo, s[2:3], v[8:9]
	s_and_saveexec_b32 s2, vcc_lo
	s_cbranch_execz .LBB3_18
; %bb.1:
	v_mul_u64_e32 v[4:5], s[8:9], v[8:9]
	v_mov_b64_e32 v[2:3], 1.0
	v_mov_b64_e32 v[10:11], 0
	v_cmp_gt_i64_e64 s5, s[8:9], 2
	s_and_b32 vcc_lo, exec_lo, s5
	v_lshlrev_b64_e32 v[6:7], 3, v[4:5]
	s_delay_alu instid0(VALU_DEP_1)
	v_add_nc_u64_e32 v[14:15], s[6:7], v[6:7]
	v_add_nc_u64_e32 v[12:13], s[10:11], v[6:7]
	global_store_b64 v[14:15], v[2:3], off
	global_store_b64 v[12:13], v[10:11], off
	global_load_b64 v[2:3], v[14:15], off
	s_wait_xcnt 0x0
	v_add_nc_u64_e32 v[14:15], s[12:13], v[6:7]
	s_wait_loadcnt 0x0
	global_store_b64 v[14:15], v[2:3], off
	s_cbranch_vccnz .LBB3_3
; %bb.2:
	s_wait_xcnt 0x0
	v_mad_nc_u64_u32 v[2:3], s8, v8, s[8:9]
	s_delay_alu instid0(VALU_DEP_1) | instskip(NEXT) | instid1(VALU_DEP_1)
	v_mad_u32 v1, s9, v8, v3
	v_mad_u32 v3, s8, v9, v1
	s_add_nc_u64 s[28:29], s[8:9], -3
	s_cbranch_execz .LBB3_4
	s_branch .LBB3_11
.LBB3_3:
                                        ; implicit-def: $vgpr2_vgpr3
	s_add_nc_u64 s[28:29], s[8:9], -3
.LBB3_4:
	s_clause 0x1
	s_load_b128 s[20:23], s[0:1], 0x40
	s_load_b64 s[30:31], s[0:1], 0x50
	s_lshl_b64 s[34:35], s[24:25], 11
	v_sub_nc_u64_e64 v[4:5], v[4:5], s[8:9]
	v_lshl_or_b32 v2, v0, 3, s34
	v_mov_b32_e32 v3, s35
	s_wait_xcnt 0x0
	s_lshl_b64 s[0:1], s[28:29], 3
	v_add_nc_u64_e32 v[8:9], 8, v[12:13]
	v_add_nc_u64_e32 v[18:19], s[0:1], v[12:13]
	;; [unrolled: 1-line block ×4, first 2 shown]
	v_lshl_add_u64 v[2:3], s[8:9], 1, v[4:5]
	v_add_nc_u64_e32 v[10:11], 8, v[14:15]
	s_mov_b64 s[2:3], 0x1fffffffffffffff
	s_delay_alu instid0(SALU_CYCLE_1)
	v_cmp_gt_u64_e64 s33, s[28:29], s[2:3]
	v_add_nc_u64_e32 v[26:27], 8, v[20:21]
	v_mul_lo_u32 v1, s8, v17
	v_mul_lo_u32 v34, s9, v16
	v_mad_nc_u64_u32 v[22:23], s8, v16, s[12:13]
	v_mad_nc_u64_u32 v[24:25], s8, v16, s[10:11]
	s_wait_kmcnt 0x0
	v_lshl_add_u64 v[28:29], v[4:5], 3, s[22:23]
	v_fma_f64 v[4:5], s[20:21], 2.0, 1.0
	v_lshl_add_u64 v[30:31], v[2:3], 3, s[22:23]
	v_add_nc_u64_e32 v[16:17], 8, v[18:19]
	v_cmp_lt_u64_e64 s2, v[18:19], v[12:13]
	v_add_nc_u64_e32 v[32:33], s[0:1], v[28:29]
	v_add3_u32 v23, v34, v23, v1
	v_add3_u32 v25, v34, v25, v1
	v_add_nc_u64_e32 v[34:35], s[0:1], v[30:31]
	v_cmp_lt_u64_e32 vcc_lo, v[16:17], v[8:9]
	v_cmp_lt_u64_e64 s0, v[26:27], v[10:11]
	v_add_nc_u64_e32 v[16:17], 8, v[28:29]
	v_add_nc_u64_e32 v[26:27], 8, v[32:33]
	v_add_nc_u64_e32 v[22:23], -8, v[22:23]
	v_add_nc_u64_e32 v[24:25], -8, v[24:25]
	v_add_nc_u64_e32 v[28:29], 8, v[30:31]
	v_add_nc_u64_e32 v[30:31], 8, v[34:35]
	s_or_b32 s0, s0, vcc_lo
	v_cmp_lt_u64_e64 s4, v[26:27], v[16:17]
	v_cmp_lt_u64_e64 s1, v[12:13], v[22:23]
	;; [unrolled: 1-line block ×3, first 2 shown]
	s_or_b32 s33, s0, s33
	v_cmp_lt_u64_e32 vcc_lo, v[30:31], v[28:29]
	v_cmp_lt_u64_e64 s0, v[20:21], v[14:15]
	s_or_b32 s2, s2, s33
	v_lshlrev_b32_e32 v22, 3, v0
	s_or_b32 s2, s4, s2
	s_and_b32 s3, s1, s3
	s_or_b32 s1, vcc_lo, s2
	s_delay_alu instid0(SALU_CYCLE_1) | instskip(SKIP_2) | instid1(SALU_CYCLE_1)
	s_or_b32 s2, s0, s1
	s_add_nc_u64 s[0:1], s[8:9], -2
	s_nor_b32 s2, s3, s2
	s_and_saveexec_b32 s3, s2
	s_delay_alu instid0(SALU_CYCLE_1)
	s_xor_b32 s4, exec_lo, s3
	s_cbranch_execz .LBB3_7
; %bb.5:
	global_load_b64 v[18:19], v[12:13], off
	global_load_b64 v[20:21], v[14:15], off
	v_mov_b32_e32 v23, 0
	v_add_nc_u64_e32 v[6:7], s[22:23], v[6:7]
	s_mov_b64 s[2:3], s[0:1]
	s_wait_xcnt 0x1
	s_delay_alu instid0(VALU_DEP_2) | instskip(NEXT) | instid1(VALU_DEP_1)
	v_add_nc_u64_e32 v[12:13], s[34:35], v[22:23]
	v_add_nc_u64_e32 v[12:13], 16, v[12:13]
	s_wait_xcnt 0x0
	s_delay_alu instid0(VALU_DEP_1) | instskip(NEXT) | instid1(VALU_DEP_1)
	v_mad_nc_u64_u32 v[14:15], s8, v12, s[22:23]
	v_mad_u32 v1, s9, v12, v15
	s_delay_alu instid0(VALU_DEP_1) | instskip(NEXT) | instid1(VALU_DEP_1)
	v_mad_u32 v15, s8, v13, v1
	v_add_nc_u64_e32 v[12:13], 8, v[14:15]
	v_add_nc_u64_e32 v[14:15], 8, v[6:7]
.LBB3_6:                                ; =>This Inner Loop Header: Depth=1
	s_wait_loadcnt 0x1
	v_fma_f64 v[6:7], s[16:17], v[18:19], s[18:19]
	s_add_nc_u64 s[2:3], s[2:3], -1
	s_delay_alu instid0(SALU_CYCLE_1) | instskip(NEXT) | instid1(VALU_DEP_1)
	s_cmp_eq_u64 s[2:3], 0
	v_div_scale_f64 v[18:19], null, v[6:7], v[6:7], -s[14:15]
	v_div_scale_f64 v[26:27], vcc_lo, -s[14:15], v[6:7], -s[14:15]
	s_delay_alu instid0(VALU_DEP_2) | instskip(SKIP_1) | instid1(TRANS32_DEP_1)
	v_rcp_f64_e32 v[22:23], v[18:19]
	v_nop
	v_fma_f64 v[24:25], -v[18:19], v[22:23], 1.0
	s_delay_alu instid0(VALU_DEP_1) | instskip(NEXT) | instid1(VALU_DEP_1)
	v_fmac_f64_e32 v[22:23], v[22:23], v[24:25]
	v_fma_f64 v[24:25], -v[18:19], v[22:23], 1.0
	s_delay_alu instid0(VALU_DEP_1) | instskip(NEXT) | instid1(VALU_DEP_1)
	v_fmac_f64_e32 v[22:23], v[22:23], v[24:25]
	v_mul_f64_e32 v[24:25], v[26:27], v[22:23]
	s_delay_alu instid0(VALU_DEP_1) | instskip(NEXT) | instid1(VALU_DEP_1)
	v_fma_f64 v[18:19], -v[18:19], v[24:25], v[26:27]
	v_div_fmas_f64 v[18:19], v[18:19], v[22:23], v[24:25]
	s_delay_alu instid0(VALU_DEP_1)
	v_div_fixup_f64 v[18:19], v[18:19], v[6:7], -s[14:15]
	global_store_b64 v[8:9], v[18:19], off
	global_load_b64 v[22:23], v[16:17], off
	global_load_b64 v[24:25], v[14:15], off
	;; [unrolled: 1-line block ×3, first 2 shown]
	s_wait_xcnt 0x3
	v_add_nc_u64_e32 v[8:9], 8, v[8:9]
	s_wait_xcnt 0x2
	v_add_nc_u64_e32 v[16:17], 8, v[16:17]
	;; [unrolled: 2-line block ×3, first 2 shown]
	v_add_nc_u64_e32 v[14:15], 8, v[14:15]
	s_wait_loadcnt 0x2
	v_mul_f64_e32 v[22:23], s[20:21], v[22:23]
	s_wait_loadcnt 0x1
	s_delay_alu instid0(VALU_DEP_1) | instskip(SKIP_1) | instid1(VALU_DEP_1)
	v_fma_f64 v[22:23], v[4:5], v[24:25], -v[22:23]
	s_wait_loadcnt 0x0
	v_fma_f64 v[22:23], -s[30:31], v[26:27], v[22:23]
	s_delay_alu instid0(VALU_DEP_1) | instskip(NEXT) | instid1(VALU_DEP_1)
	v_fma_f64 v[20:21], -s[16:17], v[20:21], v[22:23]
	v_div_scale_f64 v[22:23], null, v[6:7], v[6:7], v[20:21]
	v_div_scale_f64 v[28:29], vcc_lo, v[20:21], v[6:7], v[20:21]
	s_delay_alu instid0(VALU_DEP_2) | instskip(SKIP_1) | instid1(TRANS32_DEP_1)
	v_rcp_f64_e32 v[24:25], v[22:23]
	v_nop
	v_fma_f64 v[26:27], -v[22:23], v[24:25], 1.0
	s_delay_alu instid0(VALU_DEP_1) | instskip(NEXT) | instid1(VALU_DEP_1)
	v_fmac_f64_e32 v[24:25], v[24:25], v[26:27]
	v_fma_f64 v[26:27], -v[22:23], v[24:25], 1.0
	s_delay_alu instid0(VALU_DEP_1) | instskip(NEXT) | instid1(VALU_DEP_1)
	v_fmac_f64_e32 v[24:25], v[24:25], v[26:27]
	v_mul_f64_e32 v[26:27], v[28:29], v[24:25]
	s_delay_alu instid0(VALU_DEP_1) | instskip(NEXT) | instid1(VALU_DEP_1)
	v_fma_f64 v[22:23], -v[22:23], v[26:27], v[28:29]
	v_div_fmas_f64 v[22:23], v[22:23], v[24:25], v[26:27]
	s_delay_alu instid0(VALU_DEP_1)
	v_div_fixup_f64 v[20:21], v[22:23], v[6:7], v[20:21]
                                        ; implicit-def: $vgpr6_vgpr7
                                        ; implicit-def: $vgpr22
	global_store_b64 v[10:11], v[20:21], off
	s_wait_xcnt 0x0
	v_add_nc_u64_e32 v[10:11], 8, v[10:11]
	s_cbranch_scc0 .LBB3_6
.LBB3_7:
	s_and_not1_saveexec_b32 s2, s4
	s_cbranch_execz .LBB3_10
; %bb.8:
	v_mov_b32_e32 v1, 0
	v_add_nc_u64_e32 v[12:13], 8, v[6:7]
	s_delay_alu instid0(VALU_DEP_2) | instskip(SKIP_1) | instid1(VALU_DEP_3)
	v_mov_b32_e32 v23, v1
	v_add_nc_u64_e32 v[10:11], s[26:27], v[0:1]
	v_add_nc_u64_e32 v[6:7], s[22:23], v[12:13]
	s_delay_alu instid0(VALU_DEP_3) | instskip(NEXT) | instid1(VALU_DEP_3)
	v_add_nc_u64_e32 v[8:9], s[34:35], v[22:23]
	v_mul_u64_e32 v[10:11], s[8:9], v[10:11]
	s_delay_alu instid0(VALU_DEP_2) | instskip(NEXT) | instid1(VALU_DEP_1)
	v_add_nc_u64_e32 v[8:9], 16, v[8:9]
	v_mad_nc_u64_u32 v[14:15], s8, v8, s[22:23]
	s_delay_alu instid0(VALU_DEP_1) | instskip(NEXT) | instid1(VALU_DEP_4)
	v_mad_u32 v1, s9, v8, v15
	v_lshl_add_u64 v[10:11], v[10:11], 3, s[22:23]
	s_delay_alu instid0(VALU_DEP_2) | instskip(SKIP_2) | instid1(VALU_DEP_4)
	v_mad_u32 v15, s8, v9, v1
	v_add_nc_u64_e32 v[8:9], s[12:13], v[12:13]
	v_add_nc_u64_e32 v[12:13], s[10:11], v[12:13]
	;; [unrolled: 1-line block ×3, first 2 shown]
	s_delay_alu instid0(VALU_DEP_4)
	v_add_nc_u64_e32 v[14:15], 8, v[14:15]
.LBB3_9:                                ; =>This Inner Loop Header: Depth=1
	global_load_b64 v[16:17], v[12:13], off offset:-8
	s_add_nc_u64 s[0:1], s[0:1], -1
	s_delay_alu instid0(SALU_CYCLE_1) | instskip(SKIP_2) | instid1(VALU_DEP_1)
	s_cmp_eq_u64 s[0:1], 0
	s_wait_loadcnt 0x0
	v_fma_f64 v[16:17], s[16:17], v[16:17], s[18:19]
	v_div_scale_f64 v[18:19], null, v[16:17], v[16:17], -s[14:15]
	v_div_scale_f64 v[24:25], vcc_lo, -s[14:15], v[16:17], -s[14:15]
	s_delay_alu instid0(VALU_DEP_2) | instskip(SKIP_1) | instid1(TRANS32_DEP_1)
	v_rcp_f64_e32 v[20:21], v[18:19]
	v_nop
	v_fma_f64 v[22:23], -v[18:19], v[20:21], 1.0
	s_delay_alu instid0(VALU_DEP_1) | instskip(NEXT) | instid1(VALU_DEP_1)
	v_fmac_f64_e32 v[20:21], v[20:21], v[22:23]
	v_fma_f64 v[22:23], -v[18:19], v[20:21], 1.0
	s_delay_alu instid0(VALU_DEP_1) | instskip(NEXT) | instid1(VALU_DEP_1)
	v_fmac_f64_e32 v[20:21], v[20:21], v[22:23]
	v_mul_f64_e32 v[22:23], v[24:25], v[20:21]
	s_delay_alu instid0(VALU_DEP_1) | instskip(NEXT) | instid1(VALU_DEP_1)
	v_fma_f64 v[18:19], -v[18:19], v[22:23], v[24:25]
	v_div_fmas_f64 v[18:19], v[18:19], v[20:21], v[22:23]
	s_delay_alu instid0(VALU_DEP_1)
	v_div_fixup_f64 v[18:19], v[18:19], v[16:17], -s[14:15]
	global_store_b64 v[12:13], v[18:19], off
	global_load_b64 v[18:19], v[10:11], off
	global_load_b64 v[20:21], v[6:7], off
	;; [unrolled: 1-line block ×3, first 2 shown]
	global_load_b64 v[24:25], v[8:9], off offset:-8
	v_add_nc_u64_e32 v[12:13], 8, v[12:13]
	s_wait_xcnt 0x2
	v_add_nc_u64_e32 v[6:7], 8, v[6:7]
	v_add_nc_u64_e32 v[10:11], 8, v[10:11]
	s_wait_xcnt 0x1
	v_add_nc_u64_e32 v[14:15], 8, v[14:15]
	s_wait_loadcnt 0x3
	v_mul_f64_e32 v[18:19], s[20:21], v[18:19]
	s_wait_loadcnt 0x2
	s_delay_alu instid0(VALU_DEP_1) | instskip(SKIP_1) | instid1(VALU_DEP_1)
	v_fma_f64 v[18:19], v[4:5], v[20:21], -v[18:19]
	s_wait_loadcnt 0x1
	v_fma_f64 v[18:19], -s[30:31], v[22:23], v[18:19]
	s_wait_loadcnt 0x0
	s_delay_alu instid0(VALU_DEP_1) | instskip(NEXT) | instid1(VALU_DEP_1)
	v_fma_f64 v[18:19], -s[16:17], v[24:25], v[18:19]
	v_div_scale_f64 v[20:21], null, v[16:17], v[16:17], v[18:19]
	v_div_scale_f64 v[26:27], vcc_lo, v[18:19], v[16:17], v[18:19]
	s_delay_alu instid0(VALU_DEP_2) | instskip(SKIP_1) | instid1(TRANS32_DEP_1)
	v_rcp_f64_e32 v[22:23], v[20:21]
	v_nop
	v_fma_f64 v[24:25], -v[20:21], v[22:23], 1.0
	s_delay_alu instid0(VALU_DEP_1) | instskip(NEXT) | instid1(VALU_DEP_1)
	v_fmac_f64_e32 v[22:23], v[22:23], v[24:25]
	v_fma_f64 v[24:25], -v[20:21], v[22:23], 1.0
	s_delay_alu instid0(VALU_DEP_1) | instskip(NEXT) | instid1(VALU_DEP_1)
	v_fmac_f64_e32 v[22:23], v[22:23], v[24:25]
	v_mul_f64_e32 v[24:25], v[26:27], v[22:23]
	s_delay_alu instid0(VALU_DEP_1) | instskip(NEXT) | instid1(VALU_DEP_1)
	v_fma_f64 v[20:21], -v[20:21], v[24:25], v[26:27]
	v_div_fmas_f64 v[20:21], v[20:21], v[22:23], v[24:25]
	s_delay_alu instid0(VALU_DEP_1)
	v_div_fixup_f64 v[16:17], v[20:21], v[16:17], v[18:19]
	global_store_b64 v[8:9], v[16:17], off
	s_wait_xcnt 0x0
	v_add_nc_u64_e32 v[8:9], 8, v[8:9]
	s_cbranch_scc0 .LBB3_9
.LBB3_10:
	s_or_b32 exec_lo, exec_lo, s2
.LBB3_11:
	v_mov_b64_e32 v[4:5], 1.0
	s_wait_xcnt 0x0
	s_delay_alu instid0(VALU_DEP_2)
	v_lshl_add_u64 v[2:3], v[2:3], 3, s[6:7]
	s_and_not1_b32 vcc_lo, exec_lo, s5
	global_store_b64 v[2:3], v[4:5], off offset:-8
	s_cbranch_vccnz .LBB3_18
; %bb.12:
	v_mov_b32_e32 v1, 0
	s_lshl_b32 s0, s29, 3
	s_mov_b64 s[2:3], 0x2000000000000000
	s_delay_alu instid0(SALU_CYCLE_1) | instskip(SKIP_2) | instid1(VALU_DEP_1)
	v_cmp_lt_u64_e64 s1, s[28:29], s[2:3]
	s_wait_xcnt 0x0
	v_add_nc_u64_e32 v[2:3], s[26:27], v[0:1]
	v_add_nc_u64_e32 v[2:3], 2, v[2:3]
	s_delay_alu instid0(VALU_DEP_1) | instskip(NEXT) | instid1(VALU_DEP_1)
	v_mul_u64_e32 v[2:3], s[8:9], v[2:3]
	v_lshl_add_u64 v[2:3], v[2:3], 3, s[6:7]
	s_delay_alu instid0(VALU_DEP_1) | instskip(SKIP_2) | instid1(VALU_DEP_3)
	v_mad_nc_u64_u32 v[4:5], s28, -8, v[2:3]
	v_add_nc_u64_e32 v[6:7], -16, v[2:3]
	v_add_nc_u64_e32 v[2:3], -8, v[2:3]
	v_subrev_nc_u32_e32 v1, s0, v5
	s_delay_alu instid0(VALU_DEP_1) | instskip(NEXT) | instid1(VALU_DEP_1)
	v_subrev_nc_u32_e32 v5, s28, v1
	v_add_nc_u64_e32 v[8:9], -16, v[4:5]
	v_add_nc_u64_e32 v[4:5], -8, v[4:5]
	s_delay_alu instid0(VALU_DEP_2) | instskip(NEXT) | instid1(VALU_DEP_2)
	v_cmp_le_u64_e32 vcc_lo, v[8:9], v[6:7]
	v_cmp_le_u64_e64 s0, v[4:5], v[2:3]
	s_and_b32 s0, s0, vcc_lo
	s_delay_alu instid0(SALU_CYCLE_1) | instskip(SKIP_2) | instid1(SALU_CYCLE_1)
	s_and_b32 s2, s0, s1
	s_add_nc_u64 s[0:1], s[8:9], -1
	s_and_saveexec_b32 s3, s2
	s_xor_b32 s4, exec_lo, s3
	s_cbranch_execz .LBB3_15
; %bb.13:
	global_load_b64 v[8:9], v[2:3], off
	s_lshl_b64 s[2:3], s[24:25], 11
	s_delay_alu instid0(SALU_CYCLE_1) | instskip(SKIP_2) | instid1(VALU_DEP_1)
	v_lshl_or_b32 v0, v0, 3, s2
	v_mov_b32_e32 v1, s3
	s_add_nc_u64 s[2:3], s[8:9], -1
	v_add_nc_u64_e32 v[0:1], 16, v[0:1]
	s_delay_alu instid0(VALU_DEP_1) | instskip(NEXT) | instid1(VALU_DEP_1)
	v_mad_nc_u64_u32 v[6:7], s8, v0, -16
	v_mad_u32 v0, s9, v0, v7
	s_delay_alu instid0(VALU_DEP_1) | instskip(SKIP_1) | instid1(VALU_DEP_1)
	v_mad_u32 v7, s8, v1, v0
	s_wait_xcnt 0x0
	v_add_nc_u64_e32 v[2:3], s[12:13], v[6:7]
	v_add_nc_u64_e32 v[4:5], s[10:11], v[6:7]
	;; [unrolled: 1-line block ×3, first 2 shown]
.LBB3_14:                               ; =>This Inner Loop Header: Depth=1
	global_load_b64 v[0:1], v[4:5], off
	global_load_b64 v[10:11], v[2:3], off
	s_add_nc_u64 s[2:3], s[2:3], -1
	s_wait_xcnt 0x0
	v_add_nc_u64_e32 v[2:3], -8, v[2:3]
	v_cmp_gt_u64_e64 s5, s[2:3], 1
	v_add_nc_u64_e32 v[4:5], -8, v[4:5]
	s_and_b32 vcc_lo, exec_lo, s5
	s_wait_loadcnt 0x0
	v_fmac_f64_e32 v[10:11], v[0:1], v[8:9]
                                        ; implicit-def: $vgpr0_vgpr1
	global_store_b64 v[6:7], v[10:11], off
	s_wait_xcnt 0x0
	v_add_nc_u64_e32 v[6:7], -8, v[6:7]
	v_mov_b64_e32 v[8:9], v[10:11]
	s_cbranch_vccnz .LBB3_14
.LBB3_15:
	s_and_not1_saveexec_b32 s2, s4
	s_cbranch_execz .LBB3_18
; %bb.16:
	s_lshl_b64 s[2:3], s[24:25], 11
	s_delay_alu instid0(SALU_CYCLE_1) | instskip(SKIP_1) | instid1(VALU_DEP_1)
	v_lshl_or_b32 v0, v0, 3, s2
	v_mov_b32_e32 v1, s3
	v_add_nc_u64_e32 v[0:1], 16, v[0:1]
	s_delay_alu instid0(VALU_DEP_1) | instskip(NEXT) | instid1(VALU_DEP_2)
	v_mul_lo_u32 v1, s8, v1
	v_mul_lo_u32 v8, s9, v0
	v_mad_nc_u64_u32 v[4:5], s8, v0, s[6:7]
	v_mad_nc_u64_u32 v[2:3], s8, v0, -16
	s_delay_alu instid0(VALU_DEP_2) | instskip(NEXT) | instid1(VALU_DEP_2)
	v_add3_u32 v5, v8, v5, v1
	v_add3_u32 v3, v8, v3, v1
	global_load_b64 v[6:7], v[4:5], off offset:-8
	v_add_nc_u64_e32 v[0:1], s[12:13], v[2:3]
	v_add_nc_u64_e32 v[2:3], s[10:11], v[2:3]
	s_wait_xcnt 0x0
	v_add_nc_u64_e32 v[4:5], -8, v[4:5]
.LBB3_17:                               ; =>This Inner Loop Header: Depth=1
	global_load_b64 v[8:9], v[2:3], off
	global_load_b64 v[10:11], v[0:1], off
	s_add_nc_u64 s[0:1], s[0:1], -1
	s_wait_xcnt 0x0
	v_add_nc_u64_e32 v[0:1], -8, v[0:1]
	v_cmp_lt_u64_e64 s2, s[0:1], 2
	v_add_nc_u64_e32 v[2:3], -8, v[2:3]
	s_and_b32 vcc_lo, exec_lo, s2
	s_wait_loadcnt 0x0
	v_fmac_f64_e32 v[10:11], v[8:9], v[6:7]
	v_add_nc_u64_e32 v[8:9], -8, v[4:5]
	global_store_b64 v[4:5], v[10:11], off offset:-8
	v_mov_b64_e32 v[6:7], v[10:11]
	s_wait_xcnt 0x0
	v_mov_b64_e32 v[4:5], v[8:9]
	s_cbranch_vccz .LBB3_17
.LBB3_18:
	s_endpgm
	.section	.rodata,"a",@progbits
	.p2align	6, 0x0
	.amdhsa_kernel _ZN8rajaperf9polybench12poly_adi_lamILm256EZNS0_13POLYBENCH_ADI17runHipVariantImplILm256EEEvNS_9VariantIDEEUllE0_EEvlT0_
		.amdhsa_group_segment_fixed_size 0
		.amdhsa_private_segment_fixed_size 0
		.amdhsa_kernarg_size 88
		.amdhsa_user_sgpr_count 2
		.amdhsa_user_sgpr_dispatch_ptr 0
		.amdhsa_user_sgpr_queue_ptr 0
		.amdhsa_user_sgpr_kernarg_segment_ptr 1
		.amdhsa_user_sgpr_dispatch_id 0
		.amdhsa_user_sgpr_kernarg_preload_length 0
		.amdhsa_user_sgpr_kernarg_preload_offset 0
		.amdhsa_user_sgpr_private_segment_size 0
		.amdhsa_wavefront_size32 1
		.amdhsa_uses_dynamic_stack 0
		.amdhsa_enable_private_segment 0
		.amdhsa_system_sgpr_workgroup_id_x 1
		.amdhsa_system_sgpr_workgroup_id_y 0
		.amdhsa_system_sgpr_workgroup_id_z 0
		.amdhsa_system_sgpr_workgroup_info 0
		.amdhsa_system_vgpr_workitem_id 0
		.amdhsa_next_free_vgpr 36
		.amdhsa_next_free_sgpr 36
		.amdhsa_named_barrier_count 0
		.amdhsa_reserve_vcc 1
		.amdhsa_float_round_mode_32 0
		.amdhsa_float_round_mode_16_64 0
		.amdhsa_float_denorm_mode_32 3
		.amdhsa_float_denorm_mode_16_64 3
		.amdhsa_fp16_overflow 0
		.amdhsa_memory_ordered 1
		.amdhsa_forward_progress 1
		.amdhsa_inst_pref_size 17
		.amdhsa_round_robin_scheduling 0
		.amdhsa_exception_fp_ieee_invalid_op 0
		.amdhsa_exception_fp_denorm_src 0
		.amdhsa_exception_fp_ieee_div_zero 0
		.amdhsa_exception_fp_ieee_overflow 0
		.amdhsa_exception_fp_ieee_underflow 0
		.amdhsa_exception_fp_ieee_inexact 0
		.amdhsa_exception_int_div_zero 0
	.end_amdhsa_kernel
	.section	.text._ZN8rajaperf9polybench12poly_adi_lamILm256EZNS0_13POLYBENCH_ADI17runHipVariantImplILm256EEEvNS_9VariantIDEEUllE0_EEvlT0_,"axG",@progbits,_ZN8rajaperf9polybench12poly_adi_lamILm256EZNS0_13POLYBENCH_ADI17runHipVariantImplILm256EEEvNS_9VariantIDEEUllE0_EEvlT0_,comdat
.Lfunc_end3:
	.size	_ZN8rajaperf9polybench12poly_adi_lamILm256EZNS0_13POLYBENCH_ADI17runHipVariantImplILm256EEEvNS_9VariantIDEEUllE0_EEvlT0_, .Lfunc_end3-_ZN8rajaperf9polybench12poly_adi_lamILm256EZNS0_13POLYBENCH_ADI17runHipVariantImplILm256EEEvNS_9VariantIDEEUllE0_EEvlT0_
                                        ; -- End function
	.set _ZN8rajaperf9polybench12poly_adi_lamILm256EZNS0_13POLYBENCH_ADI17runHipVariantImplILm256EEEvNS_9VariantIDEEUllE0_EEvlT0_.num_vgpr, 36
	.set _ZN8rajaperf9polybench12poly_adi_lamILm256EZNS0_13POLYBENCH_ADI17runHipVariantImplILm256EEEvNS_9VariantIDEEUllE0_EEvlT0_.num_agpr, 0
	.set _ZN8rajaperf9polybench12poly_adi_lamILm256EZNS0_13POLYBENCH_ADI17runHipVariantImplILm256EEEvNS_9VariantIDEEUllE0_EEvlT0_.numbered_sgpr, 36
	.set _ZN8rajaperf9polybench12poly_adi_lamILm256EZNS0_13POLYBENCH_ADI17runHipVariantImplILm256EEEvNS_9VariantIDEEUllE0_EEvlT0_.num_named_barrier, 0
	.set _ZN8rajaperf9polybench12poly_adi_lamILm256EZNS0_13POLYBENCH_ADI17runHipVariantImplILm256EEEvNS_9VariantIDEEUllE0_EEvlT0_.private_seg_size, 0
	.set _ZN8rajaperf9polybench12poly_adi_lamILm256EZNS0_13POLYBENCH_ADI17runHipVariantImplILm256EEEvNS_9VariantIDEEUllE0_EEvlT0_.uses_vcc, 1
	.set _ZN8rajaperf9polybench12poly_adi_lamILm256EZNS0_13POLYBENCH_ADI17runHipVariantImplILm256EEEvNS_9VariantIDEEUllE0_EEvlT0_.uses_flat_scratch, 0
	.set _ZN8rajaperf9polybench12poly_adi_lamILm256EZNS0_13POLYBENCH_ADI17runHipVariantImplILm256EEEvNS_9VariantIDEEUllE0_EEvlT0_.has_dyn_sized_stack, 0
	.set _ZN8rajaperf9polybench12poly_adi_lamILm256EZNS0_13POLYBENCH_ADI17runHipVariantImplILm256EEEvNS_9VariantIDEEUllE0_EEvlT0_.has_recursion, 0
	.set _ZN8rajaperf9polybench12poly_adi_lamILm256EZNS0_13POLYBENCH_ADI17runHipVariantImplILm256EEEvNS_9VariantIDEEUllE0_EEvlT0_.has_indirect_call, 0
	.section	.AMDGPU.csdata,"",@progbits
; Kernel info:
; codeLenInByte = 2116
; TotalNumSgprs: 38
; NumVgprs: 36
; ScratchSize: 0
; MemoryBound: 0
; FloatMode: 240
; IeeeMode: 1
; LDSByteSize: 0 bytes/workgroup (compile time only)
; SGPRBlocks: 0
; VGPRBlocks: 2
; NumSGPRsForWavesPerEU: 38
; NumVGPRsForWavesPerEU: 36
; NamedBarCnt: 0
; Occupancy: 16
; WaveLimiterHint : 0
; COMPUTE_PGM_RSRC2:SCRATCH_EN: 0
; COMPUTE_PGM_RSRC2:USER_SGPR: 2
; COMPUTE_PGM_RSRC2:TRAP_HANDLER: 0
; COMPUTE_PGM_RSRC2:TGID_X_EN: 1
; COMPUTE_PGM_RSRC2:TGID_Y_EN: 0
; COMPUTE_PGM_RSRC2:TGID_Z_EN: 0
; COMPUTE_PGM_RSRC2:TIDIG_COMP_CNT: 0
	.section	.text._ZN4RAJA8internal22HipKernelLauncherFixedILi256ENS0_8LoopDataIN4camp5tupleIJNS_4SpanINS_9Iterators16numeric_iteratorIllPlEElEESA_NS5_INS6_24strided_numeric_iteratorIllS8_EElEEEEENS4_IJEEENS3_9resources2v13HipEJZN8rajaperf9polybench13POLYBENCH_ADI17runHipVariantImplILm256EEEvNSJ_9VariantIDEEUllE1_ZNSM_ILm256EEEvSN_EUlllE_ZNSM_ILm256EEEvSN_EUllE2_ZNSM_ILm256EEEvSN_EUlllE0_EEENS0_24HipStatementListExecutorISS_NS3_4listIJNS_9statement3ForILl0ENS_6policy3hip11hip_indexerINS_17iteration_mapping6DirectELNS_23kernel_sync_requirementE0EJNS_3hip11IndexGlobalILNS_9named_dimE0ELi256ELi0EEEEEEJNSV_6LambdaILl0EJNSU_IJNS0_9LambdaArgINS0_16lambda_arg_seg_tELl0EEEEEEEEENSW_ILl1ENSX_10sequential8seq_execEJNS18_ILl1EJNSU_IJS1B_NS19_IS1A_Ll1EEEEEEEEEEEENS18_ILl2EJS1C_EEENSW_ILl2ES1F_JNS18_ILl3EJNSU_IJS1B_NS19_IS1A_Ll2EEEEEEEEEEEEEEEEEENS0_9LoopTypesINSU_IJvvvEEES1S_EEEEEEvT0_,"axG",@progbits,_ZN4RAJA8internal22HipKernelLauncherFixedILi256ENS0_8LoopDataIN4camp5tupleIJNS_4SpanINS_9Iterators16numeric_iteratorIllPlEElEESA_NS5_INS6_24strided_numeric_iteratorIllS8_EElEEEEENS4_IJEEENS3_9resources2v13HipEJZN8rajaperf9polybench13POLYBENCH_ADI17runHipVariantImplILm256EEEvNSJ_9VariantIDEEUllE1_ZNSM_ILm256EEEvSN_EUlllE_ZNSM_ILm256EEEvSN_EUllE2_ZNSM_ILm256EEEvSN_EUlllE0_EEENS0_24HipStatementListExecutorISS_NS3_4listIJNS_9statement3ForILl0ENS_6policy3hip11hip_indexerINS_17iteration_mapping6DirectELNS_23kernel_sync_requirementE0EJNS_3hip11IndexGlobalILNS_9named_dimE0ELi256ELi0EEEEEEJNSV_6LambdaILl0EJNSU_IJNS0_9LambdaArgINS0_16lambda_arg_seg_tELl0EEEEEEEEENSW_ILl1ENSX_10sequential8seq_execEJNS18_ILl1EJNSU_IJS1B_NS19_IS1A_Ll1EEEEEEEEEEEENS18_ILl2EJS1C_EEENSW_ILl2ES1F_JNS18_ILl3EJNSU_IJS1B_NS19_IS1A_Ll2EEEEEEEEEEEEEEEEEENS0_9LoopTypesINSU_IJvvvEEES1S_EEEEEEvT0_,comdat
	.protected	_ZN4RAJA8internal22HipKernelLauncherFixedILi256ENS0_8LoopDataIN4camp5tupleIJNS_4SpanINS_9Iterators16numeric_iteratorIllPlEElEESA_NS5_INS6_24strided_numeric_iteratorIllS8_EElEEEEENS4_IJEEENS3_9resources2v13HipEJZN8rajaperf9polybench13POLYBENCH_ADI17runHipVariantImplILm256EEEvNSJ_9VariantIDEEUllE1_ZNSM_ILm256EEEvSN_EUlllE_ZNSM_ILm256EEEvSN_EUllE2_ZNSM_ILm256EEEvSN_EUlllE0_EEENS0_24HipStatementListExecutorISS_NS3_4listIJNS_9statement3ForILl0ENS_6policy3hip11hip_indexerINS_17iteration_mapping6DirectELNS_23kernel_sync_requirementE0EJNS_3hip11IndexGlobalILNS_9named_dimE0ELi256ELi0EEEEEEJNSV_6LambdaILl0EJNSU_IJNS0_9LambdaArgINS0_16lambda_arg_seg_tELl0EEEEEEEEENSW_ILl1ENSX_10sequential8seq_execEJNS18_ILl1EJNSU_IJS1B_NS19_IS1A_Ll1EEEEEEEEEEEENS18_ILl2EJS1C_EEENSW_ILl2ES1F_JNS18_ILl3EJNSU_IJS1B_NS19_IS1A_Ll2EEEEEEEEEEEEEEEEEENS0_9LoopTypesINSU_IJvvvEEES1S_EEEEEEvT0_ ; -- Begin function _ZN4RAJA8internal22HipKernelLauncherFixedILi256ENS0_8LoopDataIN4camp5tupleIJNS_4SpanINS_9Iterators16numeric_iteratorIllPlEElEESA_NS5_INS6_24strided_numeric_iteratorIllS8_EElEEEEENS4_IJEEENS3_9resources2v13HipEJZN8rajaperf9polybench13POLYBENCH_ADI17runHipVariantImplILm256EEEvNSJ_9VariantIDEEUllE1_ZNSM_ILm256EEEvSN_EUlllE_ZNSM_ILm256EEEvSN_EUllE2_ZNSM_ILm256EEEvSN_EUlllE0_EEENS0_24HipStatementListExecutorISS_NS3_4listIJNS_9statement3ForILl0ENS_6policy3hip11hip_indexerINS_17iteration_mapping6DirectELNS_23kernel_sync_requirementE0EJNS_3hip11IndexGlobalILNS_9named_dimE0ELi256ELi0EEEEEEJNSV_6LambdaILl0EJNSU_IJNS0_9LambdaArgINS0_16lambda_arg_seg_tELl0EEEEEEEEENSW_ILl1ENSX_10sequential8seq_execEJNS18_ILl1EJNSU_IJS1B_NS19_IS1A_Ll1EEEEEEEEEEEENS18_ILl2EJS1C_EEENSW_ILl2ES1F_JNS18_ILl3EJNSU_IJS1B_NS19_IS1A_Ll2EEEEEEEEEEEEEEEEEENS0_9LoopTypesINSU_IJvvvEEES1S_EEEEEEvT0_
	.globl	_ZN4RAJA8internal22HipKernelLauncherFixedILi256ENS0_8LoopDataIN4camp5tupleIJNS_4SpanINS_9Iterators16numeric_iteratorIllPlEElEESA_NS5_INS6_24strided_numeric_iteratorIllS8_EElEEEEENS4_IJEEENS3_9resources2v13HipEJZN8rajaperf9polybench13POLYBENCH_ADI17runHipVariantImplILm256EEEvNSJ_9VariantIDEEUllE1_ZNSM_ILm256EEEvSN_EUlllE_ZNSM_ILm256EEEvSN_EUllE2_ZNSM_ILm256EEEvSN_EUlllE0_EEENS0_24HipStatementListExecutorISS_NS3_4listIJNS_9statement3ForILl0ENS_6policy3hip11hip_indexerINS_17iteration_mapping6DirectELNS_23kernel_sync_requirementE0EJNS_3hip11IndexGlobalILNS_9named_dimE0ELi256ELi0EEEEEEJNSV_6LambdaILl0EJNSU_IJNS0_9LambdaArgINS0_16lambda_arg_seg_tELl0EEEEEEEEENSW_ILl1ENSX_10sequential8seq_execEJNS18_ILl1EJNSU_IJS1B_NS19_IS1A_Ll1EEEEEEEEEEEENS18_ILl2EJS1C_EEENSW_ILl2ES1F_JNS18_ILl3EJNSU_IJS1B_NS19_IS1A_Ll2EEEEEEEEEEEEEEEEEENS0_9LoopTypesINSU_IJvvvEEES1S_EEEEEEvT0_
	.p2align	8
	.type	_ZN4RAJA8internal22HipKernelLauncherFixedILi256ENS0_8LoopDataIN4camp5tupleIJNS_4SpanINS_9Iterators16numeric_iteratorIllPlEElEESA_NS5_INS6_24strided_numeric_iteratorIllS8_EElEEEEENS4_IJEEENS3_9resources2v13HipEJZN8rajaperf9polybench13POLYBENCH_ADI17runHipVariantImplILm256EEEvNSJ_9VariantIDEEUllE1_ZNSM_ILm256EEEvSN_EUlllE_ZNSM_ILm256EEEvSN_EUllE2_ZNSM_ILm256EEEvSN_EUlllE0_EEENS0_24HipStatementListExecutorISS_NS3_4listIJNS_9statement3ForILl0ENS_6policy3hip11hip_indexerINS_17iteration_mapping6DirectELNS_23kernel_sync_requirementE0EJNS_3hip11IndexGlobalILNS_9named_dimE0ELi256ELi0EEEEEEJNSV_6LambdaILl0EJNSU_IJNS0_9LambdaArgINS0_16lambda_arg_seg_tELl0EEEEEEEEENSW_ILl1ENSX_10sequential8seq_execEJNS18_ILl1EJNSU_IJS1B_NS19_IS1A_Ll1EEEEEEEEEEEENS18_ILl2EJS1C_EEENSW_ILl2ES1F_JNS18_ILl3EJNSU_IJS1B_NS19_IS1A_Ll2EEEEEEEEEEEEEEEEEENS0_9LoopTypesINSU_IJvvvEEES1S_EEEEEEvT0_,@function
_ZN4RAJA8internal22HipKernelLauncherFixedILi256ENS0_8LoopDataIN4camp5tupleIJNS_4SpanINS_9Iterators16numeric_iteratorIllPlEElEESA_NS5_INS6_24strided_numeric_iteratorIllS8_EElEEEEENS4_IJEEENS3_9resources2v13HipEJZN8rajaperf9polybench13POLYBENCH_ADI17runHipVariantImplILm256EEEvNSJ_9VariantIDEEUllE1_ZNSM_ILm256EEEvSN_EUlllE_ZNSM_ILm256EEEvSN_EUllE2_ZNSM_ILm256EEEvSN_EUlllE0_EEENS0_24HipStatementListExecutorISS_NS3_4listIJNS_9statement3ForILl0ENS_6policy3hip11hip_indexerINS_17iteration_mapping6DirectELNS_23kernel_sync_requirementE0EJNS_3hip11IndexGlobalILNS_9named_dimE0ELi256ELi0EEEEEEJNSV_6LambdaILl0EJNSU_IJNS0_9LambdaArgINS0_16lambda_arg_seg_tELl0EEEEEEEEENSW_ILl1ENSX_10sequential8seq_execEJNS18_ILl1EJNSU_IJS1B_NS19_IS1A_Ll1EEEEEEEEEEEENS18_ILl2EJS1C_EEENSW_ILl2ES1F_JNS18_ILl3EJNSU_IJS1B_NS19_IS1A_Ll2EEEEEEEEEEEEEEEEEENS0_9LoopTypesINSU_IJvvvEEES1S_EEEEEEvT0_: ; @_ZN4RAJA8internal22HipKernelLauncherFixedILi256ENS0_8LoopDataIN4camp5tupleIJNS_4SpanINS_9Iterators16numeric_iteratorIllPlEElEESA_NS5_INS6_24strided_numeric_iteratorIllS8_EElEEEEENS4_IJEEENS3_9resources2v13HipEJZN8rajaperf9polybench13POLYBENCH_ADI17runHipVariantImplILm256EEEvNSJ_9VariantIDEEUllE1_ZNSM_ILm256EEEvSN_EUlllE_ZNSM_ILm256EEEvSN_EUllE2_ZNSM_ILm256EEEvSN_EUlllE0_EEENS0_24HipStatementListExecutorISS_NS3_4listIJNS_9statement3ForILl0ENS_6policy3hip11hip_indexerINS_17iteration_mapping6DirectELNS_23kernel_sync_requirementE0EJNS_3hip11IndexGlobalILNS_9named_dimE0ELi256ELi0EEEEEEJNSV_6LambdaILl0EJNSU_IJNS0_9LambdaArgINS0_16lambda_arg_seg_tELl0EEEEEEEEENSW_ILl1ENSX_10sequential8seq_execEJNS18_ILl1EJNSU_IJS1B_NS19_IS1A_Ll1EEEEEEEEEEEENS18_ILl2EJS1C_EEENSW_ILl2ES1F_JNS18_ILl3EJNSU_IJS1B_NS19_IS1A_Ll2EEEEEEEEEEEEEEEEEENS0_9LoopTypesINSU_IJvvvEEES1S_EEEEEEvT0_
; %bb.0:
	s_load_b512 s[4:19], s[0:1], 0x0
	s_bfe_u32 s2, ttmp6, 0x4000c
	s_and_b32 s3, ttmp6, 15
	s_add_co_i32 s2, s2, 1
	s_getreg_b32 s20, hwreg(HW_REG_IB_STS2, 6, 4)
	s_mul_i32 s2, ttmp9, s2
	s_delay_alu instid0(SALU_CYCLE_1) | instskip(SKIP_3) | instid1(SALU_CYCLE_1)
	s_add_co_i32 s2, s3, s2
	s_cmp_eq_u32 s20, 0
	s_mov_b32 s3, 0
	s_cselect_b32 s2, ttmp9, s2
	s_lshl_b64 s[2:3], s[2:3], 8
	s_delay_alu instid0(SALU_CYCLE_1) | instskip(SKIP_2) | instid1(VALU_DEP_1)
	v_dual_mov_b32 v3, s3 :: v_dual_bitop2_b32 v2, s2, v0 bitop3:0x54
	s_wait_kmcnt 0x0
	s_sub_nc_u64 s[2:3], s[6:7], s[4:5]
	v_add_nc_u64_e32 v[0:1], s[4:5], v[2:3]
	v_cmp_gt_i64_e64 s2, s[2:3], v[2:3]
	s_and_saveexec_b32 s3, s2
	s_cbranch_execz .LBB4_2
; %bb.1:
	s_clause 0x1
	s_load_b64 s[6:7], s[0:1], 0xb8
	s_load_b64 s[20:21], s[0:1], 0xa0
	v_mov_b64_e32 v[6:7], 1.0
	v_mov_b64_e32 v[8:9], 0
	s_wait_kmcnt 0x0
	v_mul_u64_e32 v[4:5], s[6:7], v[0:1]
	s_load_b64 s[6:7], s[0:1], 0x58
	s_wait_kmcnt 0x0
	v_lshl_add_u64 v[10:11], v[0:1], 3, s[6:7]
	s_load_b64 s[6:7], s[0:1], 0x100
	s_delay_alu instid0(VALU_DEP_2)
	v_lshl_add_u64 v[4:5], v[4:5], 3, s[20:21]
	global_store_b64 v[10:11], v[6:7], off
	global_store_b64 v[4:5], v[8:9], off
	global_load_b64 v[4:5], v[10:11], off
	s_wait_kmcnt 0x0
	v_mul_u64_e32 v[6:7], s[6:7], v[0:1]
	s_load_b64 s[6:7], s[0:1], 0xe8
	s_wait_kmcnt 0x0
	s_delay_alu instid0(VALU_DEP_1)
	v_lshl_add_u64 v[6:7], v[6:7], 3, s[6:7]
	s_wait_loadcnt 0x0
	global_store_b64 v[6:7], v[4:5], off
.LBB4_2:
	s_wait_xcnt 0x0
	s_or_b32 exec_lo, exec_lo, s3
	s_load_b128 s[28:31], s[0:1], 0x228
	s_sub_nc_u64 s[6:7], s[10:11], s[8:9]
	s_delay_alu instid0(SALU_CYCLE_1)
	v_cmp_lt_i64_e64 s3, s[6:7], 1
	s_and_b32 vcc_lo, exec_lo, s3
	s_cbranch_vccnz .LBB4_7
; %bb.3:
	s_clause 0x2
	s_load_b64 s[10:11], s[0:1], 0x1a8
	s_load_b64 s[20:21], s[0:1], 0x148
	s_load_b128 s[36:39], s[0:1], 0x1d8
	s_wait_kmcnt 0x0
	v_mul_u64_e32 v[6:7], s[10:11], v[0:1]
	v_mul_u64_e32 v[8:9], s[20:21], v[0:1]
	s_clause 0x2
	s_load_b64 s[10:11], s[0:1], 0x1f8
	s_load_b256 s[20:27], s[0:1], 0x178
	s_load_b64 s[34:35], s[0:1], 0x130
	v_fma_f64 v[4:5], s[36:37], 2.0, 1.0
	s_wait_kmcnt 0x0
	s_mul_u64 s[40:41], s[8:9], s[10:11]
	s_lshl_b64 s[8:9], s[8:9], 3
	s_lshl_b64 s[40:41], s[40:41], 3
	s_add_nc_u64 s[26:27], s[26:27], s[8:9]
	s_add_nc_u64 s[38:39], s[38:39], s[40:41]
	;; [unrolled: 1-line block ×3, first 2 shown]
	v_lshl_add_u64 v[10:11], v[0:1], 3, s[38:39]
	s_delay_alu instid0(VALU_DEP_4) | instskip(NEXT) | instid1(VALU_DEP_4)
	v_lshl_add_u64 v[12:13], v[6:7], 3, s[26:27]
	v_lshl_add_u64 v[14:15], v[8:9], 3, s[8:9]
	s_delay_alu instid0(VALU_DEP_3)
	v_add_nc_u64_e32 v[6:7], 8, v[10:11]
	s_lshl_b64 s[8:9], s[10:11], 3
	s_mov_b64 s[10:11], 0
	v_add_nc_u64_e32 v[8:9], -8, v[12:13]
	v_add_nc_u64_e32 v[10:11], -8, v[14:15]
	s_branch .LBB4_5
.LBB4_4:                                ;   in Loop: Header=BB4_5 Depth=1
	s_wait_xcnt 0x0
	s_or_b32 exec_lo, exec_lo, s3
	s_add_nc_u64 s[10:11], s[10:11], 1
	v_add_nc_u64_e32 v[8:9], 8, v[8:9]
	v_cmp_lt_i64_e64 s3, s[10:11], s[6:7]
	v_add_nc_u64_e32 v[6:7], s[8:9], v[6:7]
	v_add_nc_u64_e32 v[10:11], 8, v[10:11]
	s_and_b32 vcc_lo, exec_lo, s3
	s_cbranch_vccz .LBB4_7
.LBB4_5:                                ; =>This Inner Loop Header: Depth=1
	s_and_saveexec_b32 s3, s2
	s_cbranch_execz .LBB4_4
; %bb.6:                                ;   in Loop: Header=BB4_5 Depth=1
	global_load_b64 v[12:13], v[10:11], off
	s_wait_loadcnt 0x0
	v_fma_f64 v[16:17], s[22:23], v[12:13], s[24:25]
	s_delay_alu instid0(VALU_DEP_1) | instskip(SKIP_1) | instid1(VALU_DEP_2)
	v_div_scale_f64 v[12:13], null, v[16:17], v[16:17], -s[20:21]
	v_div_scale_f64 v[20:21], vcc_lo, -s[20:21], v[16:17], -s[20:21]
	v_rcp_f64_e32 v[14:15], v[12:13]
	v_nop
	s_delay_alu instid0(TRANS32_DEP_1) | instskip(NEXT) | instid1(VALU_DEP_1)
	v_fma_f64 v[18:19], -v[12:13], v[14:15], 1.0
	v_fmac_f64_e32 v[14:15], v[14:15], v[18:19]
	s_delay_alu instid0(VALU_DEP_1) | instskip(NEXT) | instid1(VALU_DEP_1)
	v_fma_f64 v[18:19], -v[12:13], v[14:15], 1.0
	v_fmac_f64_e32 v[14:15], v[14:15], v[18:19]
	s_delay_alu instid0(VALU_DEP_1) | instskip(NEXT) | instid1(VALU_DEP_1)
	v_mul_f64_e32 v[18:19], v[20:21], v[14:15]
	v_fma_f64 v[12:13], -v[12:13], v[18:19], v[20:21]
	s_delay_alu instid0(VALU_DEP_1) | instskip(NEXT) | instid1(VALU_DEP_1)
	v_div_fmas_f64 v[12:13], v[12:13], v[14:15], v[18:19]
	v_div_fixup_f64 v[12:13], v[12:13], v[16:17], -s[20:21]
	global_store_b64 v[10:11], v[12:13], off offset:8
	s_clause 0x1
	global_load_b128 v[12:15], v[6:7], off offset:-16
	global_load_b64 v[18:19], v[6:7], off
	global_load_b64 v[20:21], v[8:9], off
	s_wait_loadcnt 0x2
	v_mul_f64_e32 v[12:13], s[36:37], v[12:13]
	s_delay_alu instid0(VALU_DEP_1) | instskip(SKIP_1) | instid1(VALU_DEP_1)
	v_fma_f64 v[12:13], v[4:5], v[14:15], -v[12:13]
	s_wait_loadcnt 0x1
	v_fma_f64 v[12:13], -s[28:29], v[18:19], v[12:13]
	s_wait_loadcnt 0x0
	s_delay_alu instid0(VALU_DEP_1) | instskip(NEXT) | instid1(VALU_DEP_1)
	v_fma_f64 v[12:13], -s[22:23], v[20:21], v[12:13]
	v_div_scale_f64 v[14:15], null, v[16:17], v[16:17], v[12:13]
	s_delay_alu instid0(VALU_DEP_1) | instskip(SKIP_1) | instid1(TRANS32_DEP_1)
	v_rcp_f64_e32 v[18:19], v[14:15]
	v_nop
	v_fma_f64 v[20:21], -v[14:15], v[18:19], 1.0
	s_delay_alu instid0(VALU_DEP_1) | instskip(NEXT) | instid1(VALU_DEP_1)
	v_fmac_f64_e32 v[18:19], v[18:19], v[20:21]
	v_fma_f64 v[20:21], -v[14:15], v[18:19], 1.0
	s_delay_alu instid0(VALU_DEP_1) | instskip(SKIP_1) | instid1(VALU_DEP_1)
	v_fmac_f64_e32 v[18:19], v[18:19], v[20:21]
	v_div_scale_f64 v[20:21], vcc_lo, v[12:13], v[16:17], v[12:13]
	v_mul_f64_e32 v[22:23], v[20:21], v[18:19]
	s_delay_alu instid0(VALU_DEP_1) | instskip(NEXT) | instid1(VALU_DEP_1)
	v_fma_f64 v[14:15], -v[14:15], v[22:23], v[20:21]
	v_div_fmas_f64 v[14:15], v[14:15], v[18:19], v[22:23]
	s_delay_alu instid0(VALU_DEP_1)
	v_div_fixup_f64 v[12:13], v[14:15], v[16:17], v[12:13]
	global_store_b64 v[8:9], v[12:13], off offset:8
	s_branch .LBB4_4
.LBB4_7:
	s_load_b128 s[8:11], s[0:1], 0x278
	s_and_saveexec_b32 s3, s2
	s_cbranch_execz .LBB4_9
; %bb.8:
	s_load_b64 s[6:7], s[0:1], 0x248
	s_wait_kmcnt 0x0
	v_lshl_add_u64 v[2:3], v[2:3], 3, s[30:31]
	v_mov_b64_e32 v[4:5], 1.0
	s_delay_alu instid0(VALU_DEP_2) | instskip(SKIP_1) | instid1(SALU_CYCLE_1)
	v_lshl_add_u64 v[2:3], s[4:5], 3, v[2:3]
	s_add_nc_u64 s[4:5], s[8:9], -1
	s_mul_u64 s[4:5], s[4:5], s[6:7]
	s_delay_alu instid0(VALU_DEP_1) | instid1(SALU_CYCLE_1)
	v_lshl_add_u64 v[2:3], s[4:5], 3, v[2:3]
	global_store_b64 v[2:3], v[4:5], off
.LBB4_9:
	s_wait_xcnt 0x0
	s_or_b32 exec_lo, exec_lo, s3
	s_sub_nc_u64 s[4:5], s[16:17], s[12:13]
	s_delay_alu instid0(SALU_CYCLE_1) | instskip(NEXT) | instid1(SALU_CYCLE_1)
	s_or_b64 s[6:7], s[4:5], s[18:19]
	s_and_b64 s[6:7], s[6:7], 0xffffffff00000000
	s_delay_alu instid0(SALU_CYCLE_1)
	s_cmp_lg_u64 s[6:7], 0
	s_cbranch_scc0 .LBB4_18
; %bb.10:
	s_ashr_i32 s6, s19, 31
	s_mov_b32 s17, 0
	s_mov_b32 s7, s6
	s_wait_kmcnt 0x0
	s_add_nc_u64 s[8:9], s[18:19], s[6:7]
	s_delay_alu instid0(SALU_CYCLE_1) | instskip(NEXT) | instid1(SALU_CYCLE_1)
	s_xor_b64 s[8:9], s[8:9], s[6:7]
	s_cvt_f32_u32 s3, s8
	s_cvt_f32_u32 s16, s9
	s_sub_nc_u64 s[22:23], 0, s[8:9]
	s_delay_alu instid0(SALU_CYCLE_2) | instskip(NEXT) | instid1(SALU_CYCLE_3)
	s_fmamk_f32 s3, s16, 0x4f800000, s3
	v_s_rcp_f32 s3, s3
	s_delay_alu instid0(TRANS32_DEP_1) | instskip(NEXT) | instid1(SALU_CYCLE_3)
	s_mul_f32 s3, s3, 0x5f7ffffc
	s_mul_f32 s16, s3, 0x2f800000
	s_delay_alu instid0(SALU_CYCLE_3) | instskip(NEXT) | instid1(SALU_CYCLE_3)
	s_trunc_f32 s16, s16
	s_fmamk_f32 s3, s16, 0xcf800000, s3
	s_cvt_u32_f32 s21, s16
	s_delay_alu instid0(SALU_CYCLE_2) | instskip(NEXT) | instid1(SALU_CYCLE_3)
	s_cvt_u32_f32 s20, s3
	s_mul_u64 s[24:25], s[22:23], s[20:21]
	s_delay_alu instid0(SALU_CYCLE_1)
	s_mul_hi_u32 s27, s20, s25
	s_mul_i32 s26, s20, s25
	s_mul_hi_u32 s16, s20, s24
	s_mul_i32 s28, s21, s24
	s_add_nc_u64 s[26:27], s[16:17], s[26:27]
	s_mul_hi_u32 s3, s21, s24
	s_mul_hi_u32 s29, s21, s25
	s_add_co_u32 s16, s26, s28
	s_add_co_ci_u32 s16, s27, s3
	s_mul_i32 s24, s21, s25
	s_add_co_ci_u32 s25, s29, 0
	s_delay_alu instid0(SALU_CYCLE_1) | instskip(NEXT) | instid1(SALU_CYCLE_1)
	s_add_nc_u64 s[24:25], s[16:17], s[24:25]
	s_add_co_u32 s20, s20, s24
	s_cselect_b32 s3, -1, 0
	s_delay_alu instid0(SALU_CYCLE_1) | instskip(SKIP_1) | instid1(SALU_CYCLE_1)
	s_cmp_lg_u32 s3, 0
	s_add_co_ci_u32 s21, s21, s25
	s_mul_u64 s[22:23], s[22:23], s[20:21]
	s_delay_alu instid0(SALU_CYCLE_1)
	s_mul_hi_u32 s25, s20, s23
	s_mul_i32 s24, s20, s23
	s_mul_hi_u32 s16, s20, s22
	s_mul_i32 s26, s21, s22
	s_add_nc_u64 s[24:25], s[16:17], s[24:25]
	s_mul_hi_u32 s3, s21, s22
	s_mul_hi_u32 s27, s21, s23
	s_add_co_u32 s16, s24, s26
	s_add_co_ci_u32 s16, s25, s3
	s_mul_i32 s22, s21, s23
	s_add_co_ci_u32 s23, s27, 0
	s_delay_alu instid0(SALU_CYCLE_1) | instskip(NEXT) | instid1(SALU_CYCLE_1)
	s_add_nc_u64 s[22:23], s[16:17], s[22:23]
	s_add_co_u32 s3, s20, s22
	s_cselect_b32 s16, -1, 0
	s_delay_alu instid0(SALU_CYCLE_1) | instskip(SKIP_2) | instid1(SALU_CYCLE_1)
	s_cmp_lg_u32 s16, 0
	s_add_co_ci_u32 s26, s21, s23
	s_ashr_i32 s20, s5, 31
	s_mov_b32 s21, s20
	s_delay_alu instid0(SALU_CYCLE_1) | instskip(NEXT) | instid1(SALU_CYCLE_1)
	s_add_nc_u64 s[22:23], s[4:5], s[20:21]
	s_xor_b64 s[22:23], s[22:23], s[20:21]
	s_delay_alu instid0(SALU_CYCLE_1)
	s_mul_hi_u32 s25, s22, s26
	s_mul_i32 s24, s22, s26
	s_mul_hi_u32 s16, s22, s3
	s_mul_hi_u32 s28, s23, s3
	s_mul_i32 s3, s23, s3
	s_add_nc_u64 s[24:25], s[16:17], s[24:25]
	s_mul_hi_u32 s27, s23, s26
	s_add_co_u32 s3, s24, s3
	s_add_co_ci_u32 s16, s25, s28
	s_mul_i32 s26, s23, s26
	s_add_co_ci_u32 s27, s27, 0
	s_delay_alu instid0(SALU_CYCLE_1) | instskip(NEXT) | instid1(SALU_CYCLE_1)
	s_add_nc_u64 s[24:25], s[16:17], s[26:27]
	s_and_b64 s[26:27], s[24:25], 0xffffffff00000000
	s_delay_alu instid0(SALU_CYCLE_1) | instskip(NEXT) | instid1(SALU_CYCLE_1)
	s_or_b32 s26, s26, s24
	s_mul_u64 s[24:25], s[8:9], s[26:27]
	s_delay_alu instid0(SALU_CYCLE_1)
	s_sub_co_u32 s3, s22, s24
	s_cselect_b32 s16, -1, 0
	s_sub_co_i32 s22, s23, s25
	s_cmp_lg_u32 s16, 0
	s_sub_co_ci_u32 s22, s22, s9
	s_sub_co_u32 s24, s3, s8
	s_cselect_b32 s28, -1, 0
	s_delay_alu instid0(SALU_CYCLE_1) | instskip(SKIP_2) | instid1(SALU_CYCLE_1)
	s_cmp_lg_u32 s28, 0
	s_add_nc_u64 s[28:29], s[26:27], 1
	s_sub_co_ci_u32 s22, s22, 0
	s_cmp_ge_u32 s22, s9
	s_cselect_b32 s30, -1, 0
	s_cmp_ge_u32 s24, s8
	s_cselect_b32 s24, -1, 0
	s_cmp_eq_u32 s22, s9
	s_cselect_b32 s22, s24, s30
	s_add_nc_u64 s[30:31], s[26:27], 2
	s_cmp_lg_u32 s22, 0
	s_cselect_b32 s22, s30, s28
	s_cselect_b32 s24, s31, s29
	s_cmp_lg_u32 s16, 0
	s_sub_co_ci_u32 s16, s23, s25
	s_delay_alu instid0(SALU_CYCLE_1)
	s_cmp_ge_u32 s16, s9
	s_cselect_b32 s23, -1, 0
	s_cmp_ge_u32 s3, s8
	s_cselect_b32 s3, -1, 0
	s_cmp_eq_u32 s16, s9
	s_cselect_b32 s3, s3, s23
	s_delay_alu instid0(SALU_CYCLE_1) | instskip(SKIP_3) | instid1(SALU_CYCLE_1)
	s_cmp_lg_u32 s3, 0
	s_cselect_b32 s9, s24, s27
	s_cselect_b32 s8, s22, s26
	s_xor_b64 s[6:7], s[20:21], s[6:7]
	s_xor_b64 s[8:9], s[8:9], s[6:7]
	s_delay_alu instid0(SALU_CYCLE_1)
	s_sub_nc_u64 s[6:7], s[8:9], s[6:7]
	s_cbranch_execnz .LBB4_12
.LBB4_11:
	v_cvt_f32_u32_e32 v2, s18
	s_sub_co_i32 s6, 0, s18
	s_delay_alu instid0(VALU_DEP_1) | instskip(SKIP_1) | instid1(TRANS32_DEP_1)
	v_rcp_iflag_f32_e32 v2, v2
	v_nop
	v_mul_f32_e32 v2, 0x4f7ffffe, v2
	s_delay_alu instid0(VALU_DEP_1) | instskip(NEXT) | instid1(VALU_DEP_1)
	v_cvt_u32_f32_e32 v2, v2
	v_readfirstlane_b32 s3, v2
	s_mul_i32 s6, s6, s3
	s_delay_alu instid0(SALU_CYCLE_1) | instskip(NEXT) | instid1(SALU_CYCLE_1)
	s_mul_hi_u32 s6, s3, s6
	s_add_co_i32 s3, s3, s6
	s_delay_alu instid0(SALU_CYCLE_1) | instskip(NEXT) | instid1(SALU_CYCLE_1)
	s_mul_hi_u32 s3, s4, s3
	s_mul_i32 s6, s3, s18
	s_add_co_i32 s7, s3, 1
	s_sub_co_i32 s6, s4, s6
	s_wait_kmcnt 0x0
	s_sub_co_i32 s8, s6, s18
	s_cmp_ge_u32 s6, s18
	s_cselect_b32 s3, s7, s3
	s_cselect_b32 s6, s8, s6
	s_add_co_i32 s8, s3, 1
	s_cmp_ge_u32 s6, s18
	s_mov_b32 s7, 0
	s_cselect_b32 s6, s8, s3
.LBB4_12:
	s_wait_kmcnt 0x0
	s_mul_u64 s[8:9], s[6:7], s[18:19]
	s_mov_b32 s3, 0
	s_sub_nc_u64 s[4:5], s[4:5], s[8:9]
	v_nop
	v_mov_b32_e32 v3, s3
	s_cmp_lg_u64 s[4:5], 0
	s_cselect_b32 s4, -1, 0
	s_delay_alu instid0(SALU_CYCLE_1) | instskip(NEXT) | instid1(VALU_DEP_1)
	v_cndmask_b32_e64 v2, 0, 1, s4
	v_add_nc_u64_e32 v[2:3], s[6:7], v[2:3]
	s_delay_alu instid0(VALU_DEP_1)
	v_cmp_gt_i64_e32 vcc_lo, 1, v[2:3]
	s_cbranch_vccnz .LBB4_17
; %bb.13:
	s_clause 0x4
	s_load_b64 s[4:5], s[0:1], 0x2e0
	s_load_b64 s[6:7], s[0:1], 0x328
	;; [unrolled: 1-line block ×5, first 2 shown]
	s_wait_xcnt 0x0
	s_lshl_b64 s[0:1], s[12:13], 3
	s_wait_kmcnt 0x0
	v_mul_u64_e32 v[4:5], s[4:5], v[0:1]
	v_mul_u64_e32 v[6:7], s[6:7], v[0:1]
	v_lshl_add_u64 v[0:1], v[0:1], 3, s[10:11]
	s_add_nc_u64 s[10:11], s[12:13], 1
	s_mul_u64 s[6:7], s[12:13], s[16:17]
	s_mul_u64 s[10:11], s[16:17], s[10:11]
	s_lshl_b64 s[4:5], s[14:15], 3
	s_lshl_b64 s[6:7], s[6:7], 3
	;; [unrolled: 1-line block ×3, first 2 shown]
	s_delay_alu instid0(VALU_DEP_3) | instskip(NEXT) | instid1(VALU_DEP_3)
	v_lshl_add_u64 v[4:5], v[4:5], 3, s[18:19]
	v_lshl_add_u64 v[6:7], v[6:7], 3, s[8:9]
	s_mul_u64 s[8:9], s[14:15], s[16:17]
	s_delay_alu instid0(SALU_CYCLE_1)
	s_lshl_b64 s[8:9], s[8:9], 3
	s_branch .LBB4_15
.LBB4_14:                               ;   in Loop: Header=BB4_15 Depth=1
	s_wait_xcnt 0x0
	s_or_b32 exec_lo, exec_lo, s3
	v_add_nc_u64_e32 v[2:3], -1, v[2:3]
	v_add_nc_u64_e32 v[0:1], s[8:9], v[0:1]
	s_add_nc_u64 s[0:1], s[0:1], s[4:5]
	s_delay_alu instid0(VALU_DEP_2)
	v_cmp_ne_u64_e32 vcc_lo, 0, v[2:3]
	s_cbranch_vccz .LBB4_17
.LBB4_15:                               ; =>This Inner Loop Header: Depth=1
	s_and_saveexec_b32 s3, s2
	s_cbranch_execz .LBB4_14
; %bb.16:                               ;   in Loop: Header=BB4_15 Depth=1
	v_add_nc_u64_e32 v[8:9], s[0:1], v[4:5]
	v_add_nc_u64_e32 v[10:11], s[10:11], v[0:1]
	;; [unrolled: 1-line block ×3, first 2 shown]
	global_load_b64 v[14:15], v[8:9], off
	global_load_b64 v[16:17], v[10:11], off
	;; [unrolled: 1-line block ×3, first 2 shown]
	s_wait_xcnt 0x2
	v_add_nc_u64_e32 v[8:9], s[6:7], v[0:1]
	s_wait_loadcnt 0x0
	v_fmac_f64_e32 v[18:19], v[14:15], v[16:17]
	global_store_b64 v[8:9], v[18:19], off
	s_branch .LBB4_14
.LBB4_17:
	s_endpgm
.LBB4_18:
                                        ; implicit-def: $sgpr6_sgpr7
	s_branch .LBB4_11
	.section	.rodata,"a",@progbits
	.p2align	6, 0x0
	.amdhsa_kernel _ZN4RAJA8internal22HipKernelLauncherFixedILi256ENS0_8LoopDataIN4camp5tupleIJNS_4SpanINS_9Iterators16numeric_iteratorIllPlEElEESA_NS5_INS6_24strided_numeric_iteratorIllS8_EElEEEEENS4_IJEEENS3_9resources2v13HipEJZN8rajaperf9polybench13POLYBENCH_ADI17runHipVariantImplILm256EEEvNSJ_9VariantIDEEUllE1_ZNSM_ILm256EEEvSN_EUlllE_ZNSM_ILm256EEEvSN_EUllE2_ZNSM_ILm256EEEvSN_EUlllE0_EEENS0_24HipStatementListExecutorISS_NS3_4listIJNS_9statement3ForILl0ENS_6policy3hip11hip_indexerINS_17iteration_mapping6DirectELNS_23kernel_sync_requirementE0EJNS_3hip11IndexGlobalILNS_9named_dimE0ELi256ELi0EEEEEEJNSV_6LambdaILl0EJNSU_IJNS0_9LambdaArgINS0_16lambda_arg_seg_tELl0EEEEEEEEENSW_ILl1ENSX_10sequential8seq_execEJNS18_ILl1EJNSU_IJS1B_NS19_IS1A_Ll1EEEEEEEEEEEENS18_ILl2EJS1C_EEENSW_ILl2ES1F_JNS18_ILl3EJNSU_IJS1B_NS19_IS1A_Ll2EEEEEEEEEEEEEEEEEENS0_9LoopTypesINSU_IJvvvEEES1S_EEEEEEvT0_
		.amdhsa_group_segment_fixed_size 0
		.amdhsa_private_segment_fixed_size 0
		.amdhsa_kernarg_size 896
		.amdhsa_user_sgpr_count 2
		.amdhsa_user_sgpr_dispatch_ptr 0
		.amdhsa_user_sgpr_queue_ptr 0
		.amdhsa_user_sgpr_kernarg_segment_ptr 1
		.amdhsa_user_sgpr_dispatch_id 0
		.amdhsa_user_sgpr_kernarg_preload_length 0
		.amdhsa_user_sgpr_kernarg_preload_offset 0
		.amdhsa_user_sgpr_private_segment_size 0
		.amdhsa_wavefront_size32 1
		.amdhsa_uses_dynamic_stack 0
		.amdhsa_enable_private_segment 0
		.amdhsa_system_sgpr_workgroup_id_x 1
		.amdhsa_system_sgpr_workgroup_id_y 0
		.amdhsa_system_sgpr_workgroup_id_z 0
		.amdhsa_system_sgpr_workgroup_info 0
		.amdhsa_system_vgpr_workitem_id 0
		.amdhsa_next_free_vgpr 24
		.amdhsa_next_free_sgpr 42
		.amdhsa_named_barrier_count 0
		.amdhsa_reserve_vcc 1
		.amdhsa_float_round_mode_32 0
		.amdhsa_float_round_mode_16_64 0
		.amdhsa_float_denorm_mode_32 3
		.amdhsa_float_denorm_mode_16_64 3
		.amdhsa_fp16_overflow 0
		.amdhsa_memory_ordered 1
		.amdhsa_forward_progress 1
		.amdhsa_inst_pref_size 16
		.amdhsa_round_robin_scheduling 0
		.amdhsa_exception_fp_ieee_invalid_op 0
		.amdhsa_exception_fp_denorm_src 0
		.amdhsa_exception_fp_ieee_div_zero 0
		.amdhsa_exception_fp_ieee_overflow 0
		.amdhsa_exception_fp_ieee_underflow 0
		.amdhsa_exception_fp_ieee_inexact 0
		.amdhsa_exception_int_div_zero 0
	.end_amdhsa_kernel
	.section	.text._ZN4RAJA8internal22HipKernelLauncherFixedILi256ENS0_8LoopDataIN4camp5tupleIJNS_4SpanINS_9Iterators16numeric_iteratorIllPlEElEESA_NS5_INS6_24strided_numeric_iteratorIllS8_EElEEEEENS4_IJEEENS3_9resources2v13HipEJZN8rajaperf9polybench13POLYBENCH_ADI17runHipVariantImplILm256EEEvNSJ_9VariantIDEEUllE1_ZNSM_ILm256EEEvSN_EUlllE_ZNSM_ILm256EEEvSN_EUllE2_ZNSM_ILm256EEEvSN_EUlllE0_EEENS0_24HipStatementListExecutorISS_NS3_4listIJNS_9statement3ForILl0ENS_6policy3hip11hip_indexerINS_17iteration_mapping6DirectELNS_23kernel_sync_requirementE0EJNS_3hip11IndexGlobalILNS_9named_dimE0ELi256ELi0EEEEEEJNSV_6LambdaILl0EJNSU_IJNS0_9LambdaArgINS0_16lambda_arg_seg_tELl0EEEEEEEEENSW_ILl1ENSX_10sequential8seq_execEJNS18_ILl1EJNSU_IJS1B_NS19_IS1A_Ll1EEEEEEEEEEEENS18_ILl2EJS1C_EEENSW_ILl2ES1F_JNS18_ILl3EJNSU_IJS1B_NS19_IS1A_Ll2EEEEEEEEEEEEEEEEEENS0_9LoopTypesINSU_IJvvvEEES1S_EEEEEEvT0_,"axG",@progbits,_ZN4RAJA8internal22HipKernelLauncherFixedILi256ENS0_8LoopDataIN4camp5tupleIJNS_4SpanINS_9Iterators16numeric_iteratorIllPlEElEESA_NS5_INS6_24strided_numeric_iteratorIllS8_EElEEEEENS4_IJEEENS3_9resources2v13HipEJZN8rajaperf9polybench13POLYBENCH_ADI17runHipVariantImplILm256EEEvNSJ_9VariantIDEEUllE1_ZNSM_ILm256EEEvSN_EUlllE_ZNSM_ILm256EEEvSN_EUllE2_ZNSM_ILm256EEEvSN_EUlllE0_EEENS0_24HipStatementListExecutorISS_NS3_4listIJNS_9statement3ForILl0ENS_6policy3hip11hip_indexerINS_17iteration_mapping6DirectELNS_23kernel_sync_requirementE0EJNS_3hip11IndexGlobalILNS_9named_dimE0ELi256ELi0EEEEEEJNSV_6LambdaILl0EJNSU_IJNS0_9LambdaArgINS0_16lambda_arg_seg_tELl0EEEEEEEEENSW_ILl1ENSX_10sequential8seq_execEJNS18_ILl1EJNSU_IJS1B_NS19_IS1A_Ll1EEEEEEEEEEEENS18_ILl2EJS1C_EEENSW_ILl2ES1F_JNS18_ILl3EJNSU_IJS1B_NS19_IS1A_Ll2EEEEEEEEEEEEEEEEEENS0_9LoopTypesINSU_IJvvvEEES1S_EEEEEEvT0_,comdat
.Lfunc_end4:
	.size	_ZN4RAJA8internal22HipKernelLauncherFixedILi256ENS0_8LoopDataIN4camp5tupleIJNS_4SpanINS_9Iterators16numeric_iteratorIllPlEElEESA_NS5_INS6_24strided_numeric_iteratorIllS8_EElEEEEENS4_IJEEENS3_9resources2v13HipEJZN8rajaperf9polybench13POLYBENCH_ADI17runHipVariantImplILm256EEEvNSJ_9VariantIDEEUllE1_ZNSM_ILm256EEEvSN_EUlllE_ZNSM_ILm256EEEvSN_EUllE2_ZNSM_ILm256EEEvSN_EUlllE0_EEENS0_24HipStatementListExecutorISS_NS3_4listIJNS_9statement3ForILl0ENS_6policy3hip11hip_indexerINS_17iteration_mapping6DirectELNS_23kernel_sync_requirementE0EJNS_3hip11IndexGlobalILNS_9named_dimE0ELi256ELi0EEEEEEJNSV_6LambdaILl0EJNSU_IJNS0_9LambdaArgINS0_16lambda_arg_seg_tELl0EEEEEEEEENSW_ILl1ENSX_10sequential8seq_execEJNS18_ILl1EJNSU_IJS1B_NS19_IS1A_Ll1EEEEEEEEEEEENS18_ILl2EJS1C_EEENSW_ILl2ES1F_JNS18_ILl3EJNSU_IJS1B_NS19_IS1A_Ll2EEEEEEEEEEEEEEEEEENS0_9LoopTypesINSU_IJvvvEEES1S_EEEEEEvT0_, .Lfunc_end4-_ZN4RAJA8internal22HipKernelLauncherFixedILi256ENS0_8LoopDataIN4camp5tupleIJNS_4SpanINS_9Iterators16numeric_iteratorIllPlEElEESA_NS5_INS6_24strided_numeric_iteratorIllS8_EElEEEEENS4_IJEEENS3_9resources2v13HipEJZN8rajaperf9polybench13POLYBENCH_ADI17runHipVariantImplILm256EEEvNSJ_9VariantIDEEUllE1_ZNSM_ILm256EEEvSN_EUlllE_ZNSM_ILm256EEEvSN_EUllE2_ZNSM_ILm256EEEvSN_EUlllE0_EEENS0_24HipStatementListExecutorISS_NS3_4listIJNS_9statement3ForILl0ENS_6policy3hip11hip_indexerINS_17iteration_mapping6DirectELNS_23kernel_sync_requirementE0EJNS_3hip11IndexGlobalILNS_9named_dimE0ELi256ELi0EEEEEEJNSV_6LambdaILl0EJNSU_IJNS0_9LambdaArgINS0_16lambda_arg_seg_tELl0EEEEEEEEENSW_ILl1ENSX_10sequential8seq_execEJNS18_ILl1EJNSU_IJS1B_NS19_IS1A_Ll1EEEEEEEEEEEENS18_ILl2EJS1C_EEENSW_ILl2ES1F_JNS18_ILl3EJNSU_IJS1B_NS19_IS1A_Ll2EEEEEEEEEEEEEEEEEENS0_9LoopTypesINSU_IJvvvEEES1S_EEEEEEvT0_
                                        ; -- End function
	.set _ZN4RAJA8internal22HipKernelLauncherFixedILi256ENS0_8LoopDataIN4camp5tupleIJNS_4SpanINS_9Iterators16numeric_iteratorIllPlEElEESA_NS5_INS6_24strided_numeric_iteratorIllS8_EElEEEEENS4_IJEEENS3_9resources2v13HipEJZN8rajaperf9polybench13POLYBENCH_ADI17runHipVariantImplILm256EEEvNSJ_9VariantIDEEUllE1_ZNSM_ILm256EEEvSN_EUlllE_ZNSM_ILm256EEEvSN_EUllE2_ZNSM_ILm256EEEvSN_EUlllE0_EEENS0_24HipStatementListExecutorISS_NS3_4listIJNS_9statement3ForILl0ENS_6policy3hip11hip_indexerINS_17iteration_mapping6DirectELNS_23kernel_sync_requirementE0EJNS_3hip11IndexGlobalILNS_9named_dimE0ELi256ELi0EEEEEEJNSV_6LambdaILl0EJNSU_IJNS0_9LambdaArgINS0_16lambda_arg_seg_tELl0EEEEEEEEENSW_ILl1ENSX_10sequential8seq_execEJNS18_ILl1EJNSU_IJS1B_NS19_IS1A_Ll1EEEEEEEEEEEENS18_ILl2EJS1C_EEENSW_ILl2ES1F_JNS18_ILl3EJNSU_IJS1B_NS19_IS1A_Ll2EEEEEEEEEEEEEEEEEENS0_9LoopTypesINSU_IJvvvEEES1S_EEEEEEvT0_.num_vgpr, 24
	.set _ZN4RAJA8internal22HipKernelLauncherFixedILi256ENS0_8LoopDataIN4camp5tupleIJNS_4SpanINS_9Iterators16numeric_iteratorIllPlEElEESA_NS5_INS6_24strided_numeric_iteratorIllS8_EElEEEEENS4_IJEEENS3_9resources2v13HipEJZN8rajaperf9polybench13POLYBENCH_ADI17runHipVariantImplILm256EEEvNSJ_9VariantIDEEUllE1_ZNSM_ILm256EEEvSN_EUlllE_ZNSM_ILm256EEEvSN_EUllE2_ZNSM_ILm256EEEvSN_EUlllE0_EEENS0_24HipStatementListExecutorISS_NS3_4listIJNS_9statement3ForILl0ENS_6policy3hip11hip_indexerINS_17iteration_mapping6DirectELNS_23kernel_sync_requirementE0EJNS_3hip11IndexGlobalILNS_9named_dimE0ELi256ELi0EEEEEEJNSV_6LambdaILl0EJNSU_IJNS0_9LambdaArgINS0_16lambda_arg_seg_tELl0EEEEEEEEENSW_ILl1ENSX_10sequential8seq_execEJNS18_ILl1EJNSU_IJS1B_NS19_IS1A_Ll1EEEEEEEEEEEENS18_ILl2EJS1C_EEENSW_ILl2ES1F_JNS18_ILl3EJNSU_IJS1B_NS19_IS1A_Ll2EEEEEEEEEEEEEEEEEENS0_9LoopTypesINSU_IJvvvEEES1S_EEEEEEvT0_.num_agpr, 0
	.set _ZN4RAJA8internal22HipKernelLauncherFixedILi256ENS0_8LoopDataIN4camp5tupleIJNS_4SpanINS_9Iterators16numeric_iteratorIllPlEElEESA_NS5_INS6_24strided_numeric_iteratorIllS8_EElEEEEENS4_IJEEENS3_9resources2v13HipEJZN8rajaperf9polybench13POLYBENCH_ADI17runHipVariantImplILm256EEEvNSJ_9VariantIDEEUllE1_ZNSM_ILm256EEEvSN_EUlllE_ZNSM_ILm256EEEvSN_EUllE2_ZNSM_ILm256EEEvSN_EUlllE0_EEENS0_24HipStatementListExecutorISS_NS3_4listIJNS_9statement3ForILl0ENS_6policy3hip11hip_indexerINS_17iteration_mapping6DirectELNS_23kernel_sync_requirementE0EJNS_3hip11IndexGlobalILNS_9named_dimE0ELi256ELi0EEEEEEJNSV_6LambdaILl0EJNSU_IJNS0_9LambdaArgINS0_16lambda_arg_seg_tELl0EEEEEEEEENSW_ILl1ENSX_10sequential8seq_execEJNS18_ILl1EJNSU_IJS1B_NS19_IS1A_Ll1EEEEEEEEEEEENS18_ILl2EJS1C_EEENSW_ILl2ES1F_JNS18_ILl3EJNSU_IJS1B_NS19_IS1A_Ll2EEEEEEEEEEEEEEEEEENS0_9LoopTypesINSU_IJvvvEEES1S_EEEEEEvT0_.numbered_sgpr, 42
	.set _ZN4RAJA8internal22HipKernelLauncherFixedILi256ENS0_8LoopDataIN4camp5tupleIJNS_4SpanINS_9Iterators16numeric_iteratorIllPlEElEESA_NS5_INS6_24strided_numeric_iteratorIllS8_EElEEEEENS4_IJEEENS3_9resources2v13HipEJZN8rajaperf9polybench13POLYBENCH_ADI17runHipVariantImplILm256EEEvNSJ_9VariantIDEEUllE1_ZNSM_ILm256EEEvSN_EUlllE_ZNSM_ILm256EEEvSN_EUllE2_ZNSM_ILm256EEEvSN_EUlllE0_EEENS0_24HipStatementListExecutorISS_NS3_4listIJNS_9statement3ForILl0ENS_6policy3hip11hip_indexerINS_17iteration_mapping6DirectELNS_23kernel_sync_requirementE0EJNS_3hip11IndexGlobalILNS_9named_dimE0ELi256ELi0EEEEEEJNSV_6LambdaILl0EJNSU_IJNS0_9LambdaArgINS0_16lambda_arg_seg_tELl0EEEEEEEEENSW_ILl1ENSX_10sequential8seq_execEJNS18_ILl1EJNSU_IJS1B_NS19_IS1A_Ll1EEEEEEEEEEEENS18_ILl2EJS1C_EEENSW_ILl2ES1F_JNS18_ILl3EJNSU_IJS1B_NS19_IS1A_Ll2EEEEEEEEEEEEEEEEEENS0_9LoopTypesINSU_IJvvvEEES1S_EEEEEEvT0_.num_named_barrier, 0
	.set _ZN4RAJA8internal22HipKernelLauncherFixedILi256ENS0_8LoopDataIN4camp5tupleIJNS_4SpanINS_9Iterators16numeric_iteratorIllPlEElEESA_NS5_INS6_24strided_numeric_iteratorIllS8_EElEEEEENS4_IJEEENS3_9resources2v13HipEJZN8rajaperf9polybench13POLYBENCH_ADI17runHipVariantImplILm256EEEvNSJ_9VariantIDEEUllE1_ZNSM_ILm256EEEvSN_EUlllE_ZNSM_ILm256EEEvSN_EUllE2_ZNSM_ILm256EEEvSN_EUlllE0_EEENS0_24HipStatementListExecutorISS_NS3_4listIJNS_9statement3ForILl0ENS_6policy3hip11hip_indexerINS_17iteration_mapping6DirectELNS_23kernel_sync_requirementE0EJNS_3hip11IndexGlobalILNS_9named_dimE0ELi256ELi0EEEEEEJNSV_6LambdaILl0EJNSU_IJNS0_9LambdaArgINS0_16lambda_arg_seg_tELl0EEEEEEEEENSW_ILl1ENSX_10sequential8seq_execEJNS18_ILl1EJNSU_IJS1B_NS19_IS1A_Ll1EEEEEEEEEEEENS18_ILl2EJS1C_EEENSW_ILl2ES1F_JNS18_ILl3EJNSU_IJS1B_NS19_IS1A_Ll2EEEEEEEEEEEEEEEEEENS0_9LoopTypesINSU_IJvvvEEES1S_EEEEEEvT0_.private_seg_size, 0
	.set _ZN4RAJA8internal22HipKernelLauncherFixedILi256ENS0_8LoopDataIN4camp5tupleIJNS_4SpanINS_9Iterators16numeric_iteratorIllPlEElEESA_NS5_INS6_24strided_numeric_iteratorIllS8_EElEEEEENS4_IJEEENS3_9resources2v13HipEJZN8rajaperf9polybench13POLYBENCH_ADI17runHipVariantImplILm256EEEvNSJ_9VariantIDEEUllE1_ZNSM_ILm256EEEvSN_EUlllE_ZNSM_ILm256EEEvSN_EUllE2_ZNSM_ILm256EEEvSN_EUlllE0_EEENS0_24HipStatementListExecutorISS_NS3_4listIJNS_9statement3ForILl0ENS_6policy3hip11hip_indexerINS_17iteration_mapping6DirectELNS_23kernel_sync_requirementE0EJNS_3hip11IndexGlobalILNS_9named_dimE0ELi256ELi0EEEEEEJNSV_6LambdaILl0EJNSU_IJNS0_9LambdaArgINS0_16lambda_arg_seg_tELl0EEEEEEEEENSW_ILl1ENSX_10sequential8seq_execEJNS18_ILl1EJNSU_IJS1B_NS19_IS1A_Ll1EEEEEEEEEEEENS18_ILl2EJS1C_EEENSW_ILl2ES1F_JNS18_ILl3EJNSU_IJS1B_NS19_IS1A_Ll2EEEEEEEEEEEEEEEEEENS0_9LoopTypesINSU_IJvvvEEES1S_EEEEEEvT0_.uses_vcc, 1
	.set _ZN4RAJA8internal22HipKernelLauncherFixedILi256ENS0_8LoopDataIN4camp5tupleIJNS_4SpanINS_9Iterators16numeric_iteratorIllPlEElEESA_NS5_INS6_24strided_numeric_iteratorIllS8_EElEEEEENS4_IJEEENS3_9resources2v13HipEJZN8rajaperf9polybench13POLYBENCH_ADI17runHipVariantImplILm256EEEvNSJ_9VariantIDEEUllE1_ZNSM_ILm256EEEvSN_EUlllE_ZNSM_ILm256EEEvSN_EUllE2_ZNSM_ILm256EEEvSN_EUlllE0_EEENS0_24HipStatementListExecutorISS_NS3_4listIJNS_9statement3ForILl0ENS_6policy3hip11hip_indexerINS_17iteration_mapping6DirectELNS_23kernel_sync_requirementE0EJNS_3hip11IndexGlobalILNS_9named_dimE0ELi256ELi0EEEEEEJNSV_6LambdaILl0EJNSU_IJNS0_9LambdaArgINS0_16lambda_arg_seg_tELl0EEEEEEEEENSW_ILl1ENSX_10sequential8seq_execEJNS18_ILl1EJNSU_IJS1B_NS19_IS1A_Ll1EEEEEEEEEEEENS18_ILl2EJS1C_EEENSW_ILl2ES1F_JNS18_ILl3EJNSU_IJS1B_NS19_IS1A_Ll2EEEEEEEEEEEEEEEEEENS0_9LoopTypesINSU_IJvvvEEES1S_EEEEEEvT0_.uses_flat_scratch, 0
	.set _ZN4RAJA8internal22HipKernelLauncherFixedILi256ENS0_8LoopDataIN4camp5tupleIJNS_4SpanINS_9Iterators16numeric_iteratorIllPlEElEESA_NS5_INS6_24strided_numeric_iteratorIllS8_EElEEEEENS4_IJEEENS3_9resources2v13HipEJZN8rajaperf9polybench13POLYBENCH_ADI17runHipVariantImplILm256EEEvNSJ_9VariantIDEEUllE1_ZNSM_ILm256EEEvSN_EUlllE_ZNSM_ILm256EEEvSN_EUllE2_ZNSM_ILm256EEEvSN_EUlllE0_EEENS0_24HipStatementListExecutorISS_NS3_4listIJNS_9statement3ForILl0ENS_6policy3hip11hip_indexerINS_17iteration_mapping6DirectELNS_23kernel_sync_requirementE0EJNS_3hip11IndexGlobalILNS_9named_dimE0ELi256ELi0EEEEEEJNSV_6LambdaILl0EJNSU_IJNS0_9LambdaArgINS0_16lambda_arg_seg_tELl0EEEEEEEEENSW_ILl1ENSX_10sequential8seq_execEJNS18_ILl1EJNSU_IJS1B_NS19_IS1A_Ll1EEEEEEEEEEEENS18_ILl2EJS1C_EEENSW_ILl2ES1F_JNS18_ILl3EJNSU_IJS1B_NS19_IS1A_Ll2EEEEEEEEEEEEEEEEEENS0_9LoopTypesINSU_IJvvvEEES1S_EEEEEEvT0_.has_dyn_sized_stack, 0
	.set _ZN4RAJA8internal22HipKernelLauncherFixedILi256ENS0_8LoopDataIN4camp5tupleIJNS_4SpanINS_9Iterators16numeric_iteratorIllPlEElEESA_NS5_INS6_24strided_numeric_iteratorIllS8_EElEEEEENS4_IJEEENS3_9resources2v13HipEJZN8rajaperf9polybench13POLYBENCH_ADI17runHipVariantImplILm256EEEvNSJ_9VariantIDEEUllE1_ZNSM_ILm256EEEvSN_EUlllE_ZNSM_ILm256EEEvSN_EUllE2_ZNSM_ILm256EEEvSN_EUlllE0_EEENS0_24HipStatementListExecutorISS_NS3_4listIJNS_9statement3ForILl0ENS_6policy3hip11hip_indexerINS_17iteration_mapping6DirectELNS_23kernel_sync_requirementE0EJNS_3hip11IndexGlobalILNS_9named_dimE0ELi256ELi0EEEEEEJNSV_6LambdaILl0EJNSU_IJNS0_9LambdaArgINS0_16lambda_arg_seg_tELl0EEEEEEEEENSW_ILl1ENSX_10sequential8seq_execEJNS18_ILl1EJNSU_IJS1B_NS19_IS1A_Ll1EEEEEEEEEEEENS18_ILl2EJS1C_EEENSW_ILl2ES1F_JNS18_ILl3EJNSU_IJS1B_NS19_IS1A_Ll2EEEEEEEEEEEEEEEEEENS0_9LoopTypesINSU_IJvvvEEES1S_EEEEEEvT0_.has_recursion, 0
	.set _ZN4RAJA8internal22HipKernelLauncherFixedILi256ENS0_8LoopDataIN4camp5tupleIJNS_4SpanINS_9Iterators16numeric_iteratorIllPlEElEESA_NS5_INS6_24strided_numeric_iteratorIllS8_EElEEEEENS4_IJEEENS3_9resources2v13HipEJZN8rajaperf9polybench13POLYBENCH_ADI17runHipVariantImplILm256EEEvNSJ_9VariantIDEEUllE1_ZNSM_ILm256EEEvSN_EUlllE_ZNSM_ILm256EEEvSN_EUllE2_ZNSM_ILm256EEEvSN_EUlllE0_EEENS0_24HipStatementListExecutorISS_NS3_4listIJNS_9statement3ForILl0ENS_6policy3hip11hip_indexerINS_17iteration_mapping6DirectELNS_23kernel_sync_requirementE0EJNS_3hip11IndexGlobalILNS_9named_dimE0ELi256ELi0EEEEEEJNSV_6LambdaILl0EJNSU_IJNS0_9LambdaArgINS0_16lambda_arg_seg_tELl0EEEEEEEEENSW_ILl1ENSX_10sequential8seq_execEJNS18_ILl1EJNSU_IJS1B_NS19_IS1A_Ll1EEEEEEEEEEEENS18_ILl2EJS1C_EEENSW_ILl2ES1F_JNS18_ILl3EJNSU_IJS1B_NS19_IS1A_Ll2EEEEEEEEEEEEEEEEEENS0_9LoopTypesINSU_IJvvvEEES1S_EEEEEEvT0_.has_indirect_call, 0
	.section	.AMDGPU.csdata,"",@progbits
; Kernel info:
; codeLenInByte = 1928
; TotalNumSgprs: 44
; NumVgprs: 24
; ScratchSize: 0
; MemoryBound: 1
; FloatMode: 240
; IeeeMode: 1
; LDSByteSize: 0 bytes/workgroup (compile time only)
; SGPRBlocks: 0
; VGPRBlocks: 1
; NumSGPRsForWavesPerEU: 44
; NumVGPRsForWavesPerEU: 24
; NamedBarCnt: 0
; Occupancy: 16
; WaveLimiterHint : 0
; COMPUTE_PGM_RSRC2:SCRATCH_EN: 0
; COMPUTE_PGM_RSRC2:USER_SGPR: 2
; COMPUTE_PGM_RSRC2:TRAP_HANDLER: 0
; COMPUTE_PGM_RSRC2:TGID_X_EN: 1
; COMPUTE_PGM_RSRC2:TGID_Y_EN: 0
; COMPUTE_PGM_RSRC2:TGID_Z_EN: 0
; COMPUTE_PGM_RSRC2:TIDIG_COMP_CNT: 0
	.section	.text._ZN4RAJA8internal22HipKernelLauncherFixedILi256ENS0_8LoopDataIN4camp5tupleIJNS_4SpanINS_9Iterators16numeric_iteratorIllPlEElEESA_NS5_INS6_24strided_numeric_iteratorIllS8_EElEEEEENS4_IJEEENS3_9resources2v13HipEJZN8rajaperf9polybench13POLYBENCH_ADI17runHipVariantImplILm256EEEvNSJ_9VariantIDEEUllE3_ZNSM_ILm256EEEvSN_EUlllE1_ZNSM_ILm256EEEvSN_EUllE4_ZNSM_ILm256EEEvSN_EUlllE2_EEENS0_24HipStatementListExecutorISS_NS3_4listIJNS_9statement3ForILl0ENS_6policy3hip11hip_indexerINS_17iteration_mapping6DirectELNS_23kernel_sync_requirementE0EJNS_3hip11IndexGlobalILNS_9named_dimE0ELi256ELi0EEEEEEJNSV_6LambdaILl0EJNSU_IJNS0_9LambdaArgINS0_16lambda_arg_seg_tELl0EEEEEEEEENSW_ILl1ENSX_10sequential8seq_execEJNS18_ILl1EJNSU_IJS1B_NS19_IS1A_Ll1EEEEEEEEEEEENS18_ILl2EJS1C_EEENSW_ILl2ES1F_JNS18_ILl3EJNSU_IJS1B_NS19_IS1A_Ll2EEEEEEEEEEEEEEEEEENS0_9LoopTypesINSU_IJvvvEEES1S_EEEEEEvT0_,"axG",@progbits,_ZN4RAJA8internal22HipKernelLauncherFixedILi256ENS0_8LoopDataIN4camp5tupleIJNS_4SpanINS_9Iterators16numeric_iteratorIllPlEElEESA_NS5_INS6_24strided_numeric_iteratorIllS8_EElEEEEENS4_IJEEENS3_9resources2v13HipEJZN8rajaperf9polybench13POLYBENCH_ADI17runHipVariantImplILm256EEEvNSJ_9VariantIDEEUllE3_ZNSM_ILm256EEEvSN_EUlllE1_ZNSM_ILm256EEEvSN_EUllE4_ZNSM_ILm256EEEvSN_EUlllE2_EEENS0_24HipStatementListExecutorISS_NS3_4listIJNS_9statement3ForILl0ENS_6policy3hip11hip_indexerINS_17iteration_mapping6DirectELNS_23kernel_sync_requirementE0EJNS_3hip11IndexGlobalILNS_9named_dimE0ELi256ELi0EEEEEEJNSV_6LambdaILl0EJNSU_IJNS0_9LambdaArgINS0_16lambda_arg_seg_tELl0EEEEEEEEENSW_ILl1ENSX_10sequential8seq_execEJNS18_ILl1EJNSU_IJS1B_NS19_IS1A_Ll1EEEEEEEEEEEENS18_ILl2EJS1C_EEENSW_ILl2ES1F_JNS18_ILl3EJNSU_IJS1B_NS19_IS1A_Ll2EEEEEEEEEEEEEEEEEENS0_9LoopTypesINSU_IJvvvEEES1S_EEEEEEvT0_,comdat
	.protected	_ZN4RAJA8internal22HipKernelLauncherFixedILi256ENS0_8LoopDataIN4camp5tupleIJNS_4SpanINS_9Iterators16numeric_iteratorIllPlEElEESA_NS5_INS6_24strided_numeric_iteratorIllS8_EElEEEEENS4_IJEEENS3_9resources2v13HipEJZN8rajaperf9polybench13POLYBENCH_ADI17runHipVariantImplILm256EEEvNSJ_9VariantIDEEUllE3_ZNSM_ILm256EEEvSN_EUlllE1_ZNSM_ILm256EEEvSN_EUllE4_ZNSM_ILm256EEEvSN_EUlllE2_EEENS0_24HipStatementListExecutorISS_NS3_4listIJNS_9statement3ForILl0ENS_6policy3hip11hip_indexerINS_17iteration_mapping6DirectELNS_23kernel_sync_requirementE0EJNS_3hip11IndexGlobalILNS_9named_dimE0ELi256ELi0EEEEEEJNSV_6LambdaILl0EJNSU_IJNS0_9LambdaArgINS0_16lambda_arg_seg_tELl0EEEEEEEEENSW_ILl1ENSX_10sequential8seq_execEJNS18_ILl1EJNSU_IJS1B_NS19_IS1A_Ll1EEEEEEEEEEEENS18_ILl2EJS1C_EEENSW_ILl2ES1F_JNS18_ILl3EJNSU_IJS1B_NS19_IS1A_Ll2EEEEEEEEEEEEEEEEEENS0_9LoopTypesINSU_IJvvvEEES1S_EEEEEEvT0_ ; -- Begin function _ZN4RAJA8internal22HipKernelLauncherFixedILi256ENS0_8LoopDataIN4camp5tupleIJNS_4SpanINS_9Iterators16numeric_iteratorIllPlEElEESA_NS5_INS6_24strided_numeric_iteratorIllS8_EElEEEEENS4_IJEEENS3_9resources2v13HipEJZN8rajaperf9polybench13POLYBENCH_ADI17runHipVariantImplILm256EEEvNSJ_9VariantIDEEUllE3_ZNSM_ILm256EEEvSN_EUlllE1_ZNSM_ILm256EEEvSN_EUllE4_ZNSM_ILm256EEEvSN_EUlllE2_EEENS0_24HipStatementListExecutorISS_NS3_4listIJNS_9statement3ForILl0ENS_6policy3hip11hip_indexerINS_17iteration_mapping6DirectELNS_23kernel_sync_requirementE0EJNS_3hip11IndexGlobalILNS_9named_dimE0ELi256ELi0EEEEEEJNSV_6LambdaILl0EJNSU_IJNS0_9LambdaArgINS0_16lambda_arg_seg_tELl0EEEEEEEEENSW_ILl1ENSX_10sequential8seq_execEJNS18_ILl1EJNSU_IJS1B_NS19_IS1A_Ll1EEEEEEEEEEEENS18_ILl2EJS1C_EEENSW_ILl2ES1F_JNS18_ILl3EJNSU_IJS1B_NS19_IS1A_Ll2EEEEEEEEEEEEEEEEEENS0_9LoopTypesINSU_IJvvvEEES1S_EEEEEEvT0_
	.globl	_ZN4RAJA8internal22HipKernelLauncherFixedILi256ENS0_8LoopDataIN4camp5tupleIJNS_4SpanINS_9Iterators16numeric_iteratorIllPlEElEESA_NS5_INS6_24strided_numeric_iteratorIllS8_EElEEEEENS4_IJEEENS3_9resources2v13HipEJZN8rajaperf9polybench13POLYBENCH_ADI17runHipVariantImplILm256EEEvNSJ_9VariantIDEEUllE3_ZNSM_ILm256EEEvSN_EUlllE1_ZNSM_ILm256EEEvSN_EUllE4_ZNSM_ILm256EEEvSN_EUlllE2_EEENS0_24HipStatementListExecutorISS_NS3_4listIJNS_9statement3ForILl0ENS_6policy3hip11hip_indexerINS_17iteration_mapping6DirectELNS_23kernel_sync_requirementE0EJNS_3hip11IndexGlobalILNS_9named_dimE0ELi256ELi0EEEEEEJNSV_6LambdaILl0EJNSU_IJNS0_9LambdaArgINS0_16lambda_arg_seg_tELl0EEEEEEEEENSW_ILl1ENSX_10sequential8seq_execEJNS18_ILl1EJNSU_IJS1B_NS19_IS1A_Ll1EEEEEEEEEEEENS18_ILl2EJS1C_EEENSW_ILl2ES1F_JNS18_ILl3EJNSU_IJS1B_NS19_IS1A_Ll2EEEEEEEEEEEEEEEEEENS0_9LoopTypesINSU_IJvvvEEES1S_EEEEEEvT0_
	.p2align	8
	.type	_ZN4RAJA8internal22HipKernelLauncherFixedILi256ENS0_8LoopDataIN4camp5tupleIJNS_4SpanINS_9Iterators16numeric_iteratorIllPlEElEESA_NS5_INS6_24strided_numeric_iteratorIllS8_EElEEEEENS4_IJEEENS3_9resources2v13HipEJZN8rajaperf9polybench13POLYBENCH_ADI17runHipVariantImplILm256EEEvNSJ_9VariantIDEEUllE3_ZNSM_ILm256EEEvSN_EUlllE1_ZNSM_ILm256EEEvSN_EUllE4_ZNSM_ILm256EEEvSN_EUlllE2_EEENS0_24HipStatementListExecutorISS_NS3_4listIJNS_9statement3ForILl0ENS_6policy3hip11hip_indexerINS_17iteration_mapping6DirectELNS_23kernel_sync_requirementE0EJNS_3hip11IndexGlobalILNS_9named_dimE0ELi256ELi0EEEEEEJNSV_6LambdaILl0EJNSU_IJNS0_9LambdaArgINS0_16lambda_arg_seg_tELl0EEEEEEEEENSW_ILl1ENSX_10sequential8seq_execEJNS18_ILl1EJNSU_IJS1B_NS19_IS1A_Ll1EEEEEEEEEEEENS18_ILl2EJS1C_EEENSW_ILl2ES1F_JNS18_ILl3EJNSU_IJS1B_NS19_IS1A_Ll2EEEEEEEEEEEEEEEEEENS0_9LoopTypesINSU_IJvvvEEES1S_EEEEEEvT0_,@function
_ZN4RAJA8internal22HipKernelLauncherFixedILi256ENS0_8LoopDataIN4camp5tupleIJNS_4SpanINS_9Iterators16numeric_iteratorIllPlEElEESA_NS5_INS6_24strided_numeric_iteratorIllS8_EElEEEEENS4_IJEEENS3_9resources2v13HipEJZN8rajaperf9polybench13POLYBENCH_ADI17runHipVariantImplILm256EEEvNSJ_9VariantIDEEUllE3_ZNSM_ILm256EEEvSN_EUlllE1_ZNSM_ILm256EEEvSN_EUllE4_ZNSM_ILm256EEEvSN_EUlllE2_EEENS0_24HipStatementListExecutorISS_NS3_4listIJNS_9statement3ForILl0ENS_6policy3hip11hip_indexerINS_17iteration_mapping6DirectELNS_23kernel_sync_requirementE0EJNS_3hip11IndexGlobalILNS_9named_dimE0ELi256ELi0EEEEEEJNSV_6LambdaILl0EJNSU_IJNS0_9LambdaArgINS0_16lambda_arg_seg_tELl0EEEEEEEEENSW_ILl1ENSX_10sequential8seq_execEJNS18_ILl1EJNSU_IJS1B_NS19_IS1A_Ll1EEEEEEEEEEEENS18_ILl2EJS1C_EEENSW_ILl2ES1F_JNS18_ILl3EJNSU_IJS1B_NS19_IS1A_Ll2EEEEEEEEEEEEEEEEEENS0_9LoopTypesINSU_IJvvvEEES1S_EEEEEEvT0_: ; @_ZN4RAJA8internal22HipKernelLauncherFixedILi256ENS0_8LoopDataIN4camp5tupleIJNS_4SpanINS_9Iterators16numeric_iteratorIllPlEElEESA_NS5_INS6_24strided_numeric_iteratorIllS8_EElEEEEENS4_IJEEENS3_9resources2v13HipEJZN8rajaperf9polybench13POLYBENCH_ADI17runHipVariantImplILm256EEEvNSJ_9VariantIDEEUllE3_ZNSM_ILm256EEEvSN_EUlllE1_ZNSM_ILm256EEEvSN_EUllE4_ZNSM_ILm256EEEvSN_EUlllE2_EEENS0_24HipStatementListExecutorISS_NS3_4listIJNS_9statement3ForILl0ENS_6policy3hip11hip_indexerINS_17iteration_mapping6DirectELNS_23kernel_sync_requirementE0EJNS_3hip11IndexGlobalILNS_9named_dimE0ELi256ELi0EEEEEEJNSV_6LambdaILl0EJNSU_IJNS0_9LambdaArgINS0_16lambda_arg_seg_tELl0EEEEEEEEENSW_ILl1ENSX_10sequential8seq_execEJNS18_ILl1EJNSU_IJS1B_NS19_IS1A_Ll1EEEEEEEEEEEENS18_ILl2EJS1C_EEENSW_ILl2ES1F_JNS18_ILl3EJNSU_IJS1B_NS19_IS1A_Ll2EEEEEEEEEEEEEEEEEENS0_9LoopTypesINSU_IJvvvEEES1S_EEEEEEvT0_
; %bb.0:
	s_load_b512 s[4:19], s[0:1], 0x0
	s_bfe_u32 s2, ttmp6, 0x4000c
	s_and_b32 s3, ttmp6, 15
	s_add_co_i32 s2, s2, 1
	s_getreg_b32 s20, hwreg(HW_REG_IB_STS2, 6, 4)
	s_mul_i32 s2, ttmp9, s2
	s_delay_alu instid0(SALU_CYCLE_1) | instskip(SKIP_3) | instid1(SALU_CYCLE_1)
	s_add_co_i32 s2, s3, s2
	s_cmp_eq_u32 s20, 0
	s_mov_b32 s3, 0
	s_cselect_b32 s2, ttmp9, s2
	s_lshl_b64 s[2:3], s[2:3], 8
	s_delay_alu instid0(SALU_CYCLE_1)
	v_dual_mov_b32 v1, s3 :: v_dual_bitop2_b32 v0, s2, v0 bitop3:0x54
	s_wait_kmcnt 0x0
	s_sub_nc_u64 s[2:3], s[6:7], s[4:5]
	s_delay_alu instid0(VALU_DEP_1) | instid1(SALU_CYCLE_1)
	v_cmp_gt_i64_e64 s2, s[2:3], v[0:1]
	v_add_nc_u64_e32 v[0:1], s[4:5], v[0:1]
	s_and_saveexec_b32 s3, s2
	s_cbranch_execz .LBB5_2
; %bb.1:
	s_clause 0x2
	s_load_b64 s[4:5], s[0:1], 0x70
	s_load_b64 s[6:7], s[0:1], 0xb8
	s_load_b64 s[20:21], s[0:1], 0xa0
	v_mov_b64_e32 v[6:7], 1.0
	v_mov_b64_e32 v[8:9], 0
	s_wait_kmcnt 0x0
	v_mul_u64_e32 v[2:3], s[4:5], v[0:1]
	v_mul_u64_e32 v[4:5], s[6:7], v[0:1]
	s_load_b64 s[4:5], s[0:1], 0x58
	s_wait_kmcnt 0x0
	s_delay_alu instid0(VALU_DEP_2) | instskip(NEXT) | instid1(VALU_DEP_2)
	v_lshl_add_u64 v[2:3], v[2:3], 3, s[4:5]
	v_lshl_add_u64 v[4:5], v[4:5], 3, s[20:21]
	global_store_b64 v[2:3], v[6:7], off
	global_store_b64 v[4:5], v[8:9], off
	global_load_b64 v[2:3], v[2:3], off
	s_clause 0x1
	s_load_b64 s[4:5], s[0:1], 0x100
	s_load_b64 s[6:7], s[0:1], 0xe8
	s_wait_kmcnt 0x0
	v_mul_u64_e32 v[4:5], s[4:5], v[0:1]
	s_delay_alu instid0(VALU_DEP_1)
	v_lshl_add_u64 v[4:5], v[4:5], 3, s[6:7]
	s_wait_loadcnt 0x0
	global_store_b64 v[4:5], v[2:3], off
.LBB5_2:
	s_wait_xcnt 0x0
	s_or_b32 exec_lo, exec_lo, s3
	s_load_b128 s[20:23], s[0:1], 0x228
	s_sub_nc_u64 s[28:29], s[10:11], s[8:9]
	s_delay_alu instid0(SALU_CYCLE_1)
	v_cmp_lt_i64_e64 s3, s[28:29], 1
	s_and_b32 vcc_lo, exec_lo, s3
	s_cbranch_vccnz .LBB5_7
; %bb.3:
	s_clause 0x3
	s_load_b64 s[4:5], s[0:1], 0x1a8
	s_load_b64 s[6:7], s[0:1], 0x148
	;; [unrolled: 1-line block ×3, first 2 shown]
	s_load_b128 s[24:27], s[0:1], 0x1d8
	v_add_nc_u64_e32 v[2:3], -1, v[0:1]
	v_lshl_add_u64 v[10:11], v[0:1], 3, 8
	s_lshl_b64 s[34:35], s[8:9], 3
	s_load_b64 s[36:37], s[0:1], 0x130
	s_wait_kmcnt 0x0
	v_mul_u64_e32 v[6:7], s[4:5], v[0:1]
	v_mul_u64_e32 v[8:9], s[6:7], v[0:1]
	;; [unrolled: 1-line block ×4, first 2 shown]
	s_add_nc_u64 s[26:27], s[26:27], s[34:35]
	s_load_b256 s[4:11], s[0:1], 0x178
	v_mad_nc_u64_u32 v[2:3], s30, v10, s[26:27]
	v_fma_f64 v[4:5], s[24:25], 2.0, 1.0
	s_delay_alu instid0(VALU_DEP_2) | instskip(SKIP_3) | instid1(VALU_DEP_1)
	v_mad_u32 v3, s31, v10, v3
	s_wait_kmcnt 0x0
	s_add_nc_u64 s[10:11], s[10:11], s[34:35]
	s_add_nc_u64 s[34:35], s[36:37], s[34:35]
	v_mad_u32 v3, s30, v11, v3
	v_lshl_add_u64 v[6:7], v[6:7], 3, s[10:11]
	v_lshl_add_u64 v[8:9], v[8:9], 3, s[34:35]
	;; [unrolled: 1-line block ×4, first 2 shown]
	s_mov_b64 s[10:11], 0
	v_add_nc_u64_e32 v[6:7], -8, v[6:7]
	v_add_nc_u64_e32 v[8:9], -8, v[8:9]
	s_branch .LBB5_5
.LBB5_4:                                ;   in Loop: Header=BB5_5 Depth=1
	s_wait_xcnt 0x0
	s_or_b32 exec_lo, exec_lo, s3
	s_add_nc_u64 s[10:11], s[10:11], 1
	v_add_nc_u64_e32 v[6:7], 8, v[6:7]
	v_cmp_lt_i64_e64 s3, s[10:11], s[28:29]
	v_add_nc_u64_e32 v[10:11], 8, v[10:11]
	v_add_nc_u64_e32 v[8:9], 8, v[8:9]
	;; [unrolled: 1-line block ×4, first 2 shown]
	s_and_b32 vcc_lo, exec_lo, s3
	s_cbranch_vccz .LBB5_7
.LBB5_5:                                ; =>This Inner Loop Header: Depth=1
	s_and_saveexec_b32 s3, s2
	s_cbranch_execz .LBB5_4
; %bb.6:                                ;   in Loop: Header=BB5_5 Depth=1
	global_load_b64 v[14:15], v[8:9], off
	s_wait_loadcnt 0x0
	v_fma_f64 v[14:15], s[6:7], v[14:15], s[8:9]
	s_delay_alu instid0(VALU_DEP_1) | instskip(SKIP_1) | instid1(VALU_DEP_2)
	v_div_scale_f64 v[16:17], null, v[14:15], v[14:15], -s[4:5]
	v_div_scale_f64 v[22:23], vcc_lo, -s[4:5], v[14:15], -s[4:5]
	v_rcp_f64_e32 v[18:19], v[16:17]
	v_nop
	s_delay_alu instid0(TRANS32_DEP_1) | instskip(NEXT) | instid1(VALU_DEP_1)
	v_fma_f64 v[20:21], -v[16:17], v[18:19], 1.0
	v_fmac_f64_e32 v[18:19], v[18:19], v[20:21]
	s_delay_alu instid0(VALU_DEP_1) | instskip(NEXT) | instid1(VALU_DEP_1)
	v_fma_f64 v[20:21], -v[16:17], v[18:19], 1.0
	v_fmac_f64_e32 v[18:19], v[18:19], v[20:21]
	s_delay_alu instid0(VALU_DEP_1) | instskip(NEXT) | instid1(VALU_DEP_1)
	v_mul_f64_e32 v[20:21], v[22:23], v[18:19]
	v_fma_f64 v[16:17], -v[16:17], v[20:21], v[22:23]
	s_delay_alu instid0(VALU_DEP_1) | instskip(NEXT) | instid1(VALU_DEP_1)
	v_div_fmas_f64 v[16:17], v[16:17], v[18:19], v[20:21]
	v_div_fixup_f64 v[16:17], v[16:17], v[14:15], -s[4:5]
	global_store_b64 v[8:9], v[16:17], off offset:8
	global_load_b64 v[16:17], v[12:13], off
	global_load_b64 v[18:19], v[10:11], off
	;; [unrolled: 1-line block ×4, first 2 shown]
	s_wait_loadcnt 0x3
	v_mul_f64_e32 v[16:17], s[24:25], v[16:17]
	s_wait_loadcnt 0x2
	s_delay_alu instid0(VALU_DEP_1) | instskip(SKIP_1) | instid1(VALU_DEP_1)
	v_fma_f64 v[16:17], v[4:5], v[18:19], -v[16:17]
	s_wait_loadcnt 0x1
	v_fma_f64 v[16:17], -s[20:21], v[20:21], v[16:17]
	s_wait_loadcnt 0x0
	s_delay_alu instid0(VALU_DEP_1) | instskip(NEXT) | instid1(VALU_DEP_1)
	v_fma_f64 v[16:17], -s[6:7], v[22:23], v[16:17]
	v_div_scale_f64 v[18:19], null, v[14:15], v[14:15], v[16:17]
	s_delay_alu instid0(VALU_DEP_1) | instskip(SKIP_1) | instid1(TRANS32_DEP_1)
	v_rcp_f64_e32 v[20:21], v[18:19]
	v_nop
	v_fma_f64 v[22:23], -v[18:19], v[20:21], 1.0
	s_delay_alu instid0(VALU_DEP_1) | instskip(NEXT) | instid1(VALU_DEP_1)
	v_fmac_f64_e32 v[20:21], v[20:21], v[22:23]
	v_fma_f64 v[22:23], -v[18:19], v[20:21], 1.0
	s_delay_alu instid0(VALU_DEP_1) | instskip(SKIP_1) | instid1(VALU_DEP_1)
	v_fmac_f64_e32 v[20:21], v[20:21], v[22:23]
	v_div_scale_f64 v[22:23], vcc_lo, v[16:17], v[14:15], v[16:17]
	v_mul_f64_e32 v[24:25], v[22:23], v[20:21]
	s_delay_alu instid0(VALU_DEP_1) | instskip(NEXT) | instid1(VALU_DEP_1)
	v_fma_f64 v[18:19], -v[18:19], v[24:25], v[22:23]
	v_div_fmas_f64 v[18:19], v[18:19], v[20:21], v[24:25]
	s_delay_alu instid0(VALU_DEP_1)
	v_div_fixup_f64 v[14:15], v[18:19], v[14:15], v[16:17]
	global_store_b64 v[6:7], v[14:15], off offset:8
	s_branch .LBB5_4
.LBB5_7:
	s_load_b128 s[4:7], s[0:1], 0x278
	s_and_saveexec_b32 s3, s2
	s_cbranch_execz .LBB5_9
; %bb.8:
	s_load_b64 s[8:9], s[0:1], 0x248
	s_wait_kmcnt 0x0
	s_lshl_b64 s[4:5], s[4:5], 3
	v_mov_b64_e32 v[4:5], 1.0
	s_add_nc_u64 s[4:5], s[22:23], s[4:5]
	v_mul_u64_e32 v[2:3], s[8:9], v[0:1]
	s_delay_alu instid0(VALU_DEP_1)
	v_lshl_add_u64 v[2:3], v[2:3], 3, s[4:5]
	global_store_b64 v[2:3], v[4:5], off offset:-8
.LBB5_9:
	s_wait_xcnt 0x0
	s_or_b32 exec_lo, exec_lo, s3
	s_wait_kmcnt 0x0
	s_sub_nc_u64 s[4:5], s[16:17], s[12:13]
	s_delay_alu instid0(SALU_CYCLE_1) | instskip(NEXT) | instid1(SALU_CYCLE_1)
	s_or_b64 s[8:9], s[4:5], s[18:19]
	s_and_b64 s[8:9], s[8:9], 0xffffffff00000000
	s_delay_alu instid0(SALU_CYCLE_1)
	s_cmp_lg_u64 s[8:9], 0
	s_cbranch_scc0 .LBB5_18
; %bb.10:
	s_ashr_i32 s8, s19, 31
	s_mov_b32 s17, 0
	s_mov_b32 s9, s8
	s_delay_alu instid0(SALU_CYCLE_1) | instskip(NEXT) | instid1(SALU_CYCLE_1)
	s_add_nc_u64 s[10:11], s[18:19], s[8:9]
	s_xor_b64 s[10:11], s[10:11], s[8:9]
	s_delay_alu instid0(SALU_CYCLE_1) | instskip(SKIP_2) | instid1(SALU_CYCLE_2)
	s_cvt_f32_u32 s3, s10
	s_cvt_f32_u32 s16, s11
	s_sub_nc_u64 s[22:23], 0, s[10:11]
	s_fmamk_f32 s3, s16, 0x4f800000, s3
	s_delay_alu instid0(SALU_CYCLE_3) | instskip(NEXT) | instid1(TRANS32_DEP_1)
	v_s_rcp_f32 s3, s3
	s_mul_f32 s3, s3, 0x5f7ffffc
	s_delay_alu instid0(SALU_CYCLE_3) | instskip(NEXT) | instid1(SALU_CYCLE_3)
	s_mul_f32 s16, s3, 0x2f800000
	s_trunc_f32 s16, s16
	s_delay_alu instid0(SALU_CYCLE_3) | instskip(SKIP_1) | instid1(SALU_CYCLE_2)
	s_fmamk_f32 s3, s16, 0xcf800000, s3
	s_cvt_u32_f32 s21, s16
	s_cvt_u32_f32 s20, s3
	s_delay_alu instid0(SALU_CYCLE_3) | instskip(NEXT) | instid1(SALU_CYCLE_1)
	s_mul_u64 s[24:25], s[22:23], s[20:21]
	s_mul_hi_u32 s27, s20, s25
	s_mul_i32 s26, s20, s25
	s_mul_hi_u32 s16, s20, s24
	s_mul_i32 s28, s21, s24
	s_add_nc_u64 s[26:27], s[16:17], s[26:27]
	s_mul_hi_u32 s3, s21, s24
	s_mul_hi_u32 s29, s21, s25
	s_add_co_u32 s16, s26, s28
	s_add_co_ci_u32 s16, s27, s3
	s_mul_i32 s24, s21, s25
	s_add_co_ci_u32 s25, s29, 0
	s_delay_alu instid0(SALU_CYCLE_1) | instskip(NEXT) | instid1(SALU_CYCLE_1)
	s_add_nc_u64 s[24:25], s[16:17], s[24:25]
	s_add_co_u32 s20, s20, s24
	s_cselect_b32 s3, -1, 0
	s_delay_alu instid0(SALU_CYCLE_1) | instskip(SKIP_1) | instid1(SALU_CYCLE_1)
	s_cmp_lg_u32 s3, 0
	s_add_co_ci_u32 s21, s21, s25
	s_mul_u64 s[22:23], s[22:23], s[20:21]
	s_delay_alu instid0(SALU_CYCLE_1)
	s_mul_hi_u32 s25, s20, s23
	s_mul_i32 s24, s20, s23
	s_mul_hi_u32 s16, s20, s22
	s_mul_i32 s26, s21, s22
	s_add_nc_u64 s[24:25], s[16:17], s[24:25]
	s_mul_hi_u32 s3, s21, s22
	s_mul_hi_u32 s27, s21, s23
	s_add_co_u32 s16, s24, s26
	s_add_co_ci_u32 s16, s25, s3
	s_mul_i32 s22, s21, s23
	s_add_co_ci_u32 s23, s27, 0
	s_delay_alu instid0(SALU_CYCLE_1) | instskip(NEXT) | instid1(SALU_CYCLE_1)
	s_add_nc_u64 s[22:23], s[16:17], s[22:23]
	s_add_co_u32 s3, s20, s22
	s_cselect_b32 s16, -1, 0
	s_delay_alu instid0(SALU_CYCLE_1) | instskip(SKIP_2) | instid1(SALU_CYCLE_1)
	s_cmp_lg_u32 s16, 0
	s_add_co_ci_u32 s26, s21, s23
	s_ashr_i32 s20, s5, 31
	s_mov_b32 s21, s20
	s_delay_alu instid0(SALU_CYCLE_1) | instskip(NEXT) | instid1(SALU_CYCLE_1)
	s_add_nc_u64 s[22:23], s[4:5], s[20:21]
	s_xor_b64 s[22:23], s[22:23], s[20:21]
	s_delay_alu instid0(SALU_CYCLE_1)
	s_mul_hi_u32 s25, s22, s26
	s_mul_i32 s24, s22, s26
	s_mul_hi_u32 s16, s22, s3
	s_mul_hi_u32 s28, s23, s3
	s_mul_i32 s3, s23, s3
	s_add_nc_u64 s[24:25], s[16:17], s[24:25]
	s_mul_hi_u32 s27, s23, s26
	s_add_co_u32 s3, s24, s3
	s_add_co_ci_u32 s16, s25, s28
	s_mul_i32 s26, s23, s26
	s_add_co_ci_u32 s27, s27, 0
	s_delay_alu instid0(SALU_CYCLE_1) | instskip(NEXT) | instid1(SALU_CYCLE_1)
	s_add_nc_u64 s[24:25], s[16:17], s[26:27]
	s_and_b64 s[26:27], s[24:25], 0xffffffff00000000
	s_delay_alu instid0(SALU_CYCLE_1) | instskip(NEXT) | instid1(SALU_CYCLE_1)
	s_or_b32 s26, s26, s24
	s_mul_u64 s[24:25], s[10:11], s[26:27]
	s_delay_alu instid0(SALU_CYCLE_1)
	s_sub_co_u32 s3, s22, s24
	s_cselect_b32 s16, -1, 0
	s_sub_co_i32 s22, s23, s25
	s_cmp_lg_u32 s16, 0
	s_sub_co_ci_u32 s22, s22, s11
	s_sub_co_u32 s24, s3, s10
	s_cselect_b32 s28, -1, 0
	s_delay_alu instid0(SALU_CYCLE_1) | instskip(SKIP_2) | instid1(SALU_CYCLE_1)
	s_cmp_lg_u32 s28, 0
	s_add_nc_u64 s[28:29], s[26:27], 1
	s_sub_co_ci_u32 s22, s22, 0
	s_cmp_ge_u32 s22, s11
	s_cselect_b32 s30, -1, 0
	s_cmp_ge_u32 s24, s10
	s_cselect_b32 s24, -1, 0
	s_cmp_eq_u32 s22, s11
	s_cselect_b32 s22, s24, s30
	s_add_nc_u64 s[30:31], s[26:27], 2
	s_cmp_lg_u32 s22, 0
	s_cselect_b32 s22, s30, s28
	s_cselect_b32 s24, s31, s29
	s_cmp_lg_u32 s16, 0
	s_sub_co_ci_u32 s16, s23, s25
	s_delay_alu instid0(SALU_CYCLE_1)
	s_cmp_ge_u32 s16, s11
	s_cselect_b32 s23, -1, 0
	s_cmp_ge_u32 s3, s10
	s_cselect_b32 s3, -1, 0
	s_cmp_eq_u32 s16, s11
	s_cselect_b32 s3, s3, s23
	s_delay_alu instid0(SALU_CYCLE_1) | instskip(SKIP_3) | instid1(SALU_CYCLE_1)
	s_cmp_lg_u32 s3, 0
	s_cselect_b32 s11, s24, s27
	s_cselect_b32 s10, s22, s26
	s_xor_b64 s[8:9], s[20:21], s[8:9]
	s_xor_b64 s[10:11], s[10:11], s[8:9]
	s_delay_alu instid0(SALU_CYCLE_1)
	s_sub_nc_u64 s[8:9], s[10:11], s[8:9]
	s_cbranch_execnz .LBB5_12
.LBB5_11:
	v_cvt_f32_u32_e32 v2, s18
	s_sub_co_i32 s8, 0, s18
	s_delay_alu instid0(VALU_DEP_1) | instskip(SKIP_1) | instid1(TRANS32_DEP_1)
	v_rcp_iflag_f32_e32 v2, v2
	v_nop
	v_mul_f32_e32 v2, 0x4f7ffffe, v2
	s_delay_alu instid0(VALU_DEP_1) | instskip(NEXT) | instid1(VALU_DEP_1)
	v_cvt_u32_f32_e32 v2, v2
	v_readfirstlane_b32 s3, v2
	s_mul_i32 s8, s8, s3
	s_delay_alu instid0(SALU_CYCLE_1) | instskip(NEXT) | instid1(SALU_CYCLE_1)
	s_mul_hi_u32 s8, s3, s8
	s_add_co_i32 s3, s3, s8
	s_delay_alu instid0(SALU_CYCLE_1) | instskip(NEXT) | instid1(SALU_CYCLE_1)
	s_mul_hi_u32 s3, s4, s3
	s_mul_i32 s8, s3, s18
	s_add_co_i32 s9, s3, 1
	s_sub_co_i32 s8, s4, s8
	s_delay_alu instid0(SALU_CYCLE_1)
	s_sub_co_i32 s10, s8, s18
	s_cmp_ge_u32 s8, s18
	s_cselect_b32 s3, s9, s3
	s_cselect_b32 s8, s10, s8
	s_add_co_i32 s10, s3, 1
	s_cmp_ge_u32 s8, s18
	s_mov_b32 s9, 0
	s_cselect_b32 s8, s10, s3
.LBB5_12:
	s_delay_alu instid0(SALU_CYCLE_1)
	s_mul_u64 s[10:11], s[8:9], s[18:19]
	s_mov_b32 s3, 0
	s_sub_nc_u64 s[4:5], s[4:5], s[10:11]
	v_nop
	v_mov_b32_e32 v3, s3
	s_cmp_lg_u64 s[4:5], 0
	s_cselect_b32 s4, -1, 0
	s_delay_alu instid0(SALU_CYCLE_1) | instskip(NEXT) | instid1(VALU_DEP_1)
	v_cndmask_b32_e64 v2, 0, 1, s4
	v_add_nc_u64_e32 v[2:3], s[8:9], v[2:3]
	s_delay_alu instid0(VALU_DEP_1)
	v_cmp_gt_i64_e32 vcc_lo, 1, v[2:3]
	s_cbranch_vccnz .LBB5_17
; %bb.13:
	s_clause 0x4
	s_load_b64 s[4:5], s[0:1], 0x2e0
	s_load_b64 s[8:9], s[0:1], 0x328
	;; [unrolled: 1-line block ×5, first 2 shown]
	s_wait_xcnt 0x0
	s_lshl_b64 s[0:1], s[12:13], 3
	s_wait_kmcnt 0x0
	v_mul_u64_e32 v[4:5], s[4:5], v[0:1]
	v_mul_u64_e32 v[6:7], s[8:9], v[0:1]
	;; [unrolled: 1-line block ×3, first 2 shown]
	s_lshl_b64 s[4:5], s[14:15], 3
	s_delay_alu instid0(VALU_DEP_3) | instskip(NEXT) | instid1(VALU_DEP_3)
	v_lshl_add_u64 v[0:1], v[4:5], 3, s[16:17]
	v_lshl_add_u64 v[4:5], v[6:7], 3, s[18:19]
	s_delay_alu instid0(VALU_DEP_3)
	v_lshl_add_u64 v[6:7], v[8:9], 3, s[6:7]
	s_branch .LBB5_15
.LBB5_14:                               ;   in Loop: Header=BB5_15 Depth=1
	s_wait_xcnt 0x0
	s_or_b32 exec_lo, exec_lo, s3
	v_add_nc_u64_e32 v[2:3], -1, v[2:3]
	s_add_nc_u64 s[0:1], s[0:1], s[4:5]
	s_delay_alu instid0(VALU_DEP_1)
	v_cmp_ne_u64_e32 vcc_lo, 0, v[2:3]
	s_cbranch_vccz .LBB5_17
.LBB5_15:                               ; =>This Inner Loop Header: Depth=1
	s_and_saveexec_b32 s3, s2
	s_cbranch_execz .LBB5_14
; %bb.16:                               ;   in Loop: Header=BB5_15 Depth=1
	v_add_nc_u64_e32 v[8:9], s[0:1], v[0:1]
	v_add_nc_u64_e32 v[10:11], s[0:1], v[6:7]
	v_add_nc_u64_e32 v[12:13], s[0:1], v[4:5]
	global_load_b64 v[14:15], v[8:9], off
	global_load_b64 v[16:17], v[10:11], off offset:8
	global_load_b64 v[18:19], v[12:13], off
	s_wait_loadcnt 0x0
	v_fmac_f64_e32 v[18:19], v[14:15], v[16:17]
	global_store_b64 v[10:11], v[18:19], off
	s_branch .LBB5_14
.LBB5_17:
	s_endpgm
.LBB5_18:
                                        ; implicit-def: $sgpr8_sgpr9
	s_branch .LBB5_11
	.section	.rodata,"a",@progbits
	.p2align	6, 0x0
	.amdhsa_kernel _ZN4RAJA8internal22HipKernelLauncherFixedILi256ENS0_8LoopDataIN4camp5tupleIJNS_4SpanINS_9Iterators16numeric_iteratorIllPlEElEESA_NS5_INS6_24strided_numeric_iteratorIllS8_EElEEEEENS4_IJEEENS3_9resources2v13HipEJZN8rajaperf9polybench13POLYBENCH_ADI17runHipVariantImplILm256EEEvNSJ_9VariantIDEEUllE3_ZNSM_ILm256EEEvSN_EUlllE1_ZNSM_ILm256EEEvSN_EUllE4_ZNSM_ILm256EEEvSN_EUlllE2_EEENS0_24HipStatementListExecutorISS_NS3_4listIJNS_9statement3ForILl0ENS_6policy3hip11hip_indexerINS_17iteration_mapping6DirectELNS_23kernel_sync_requirementE0EJNS_3hip11IndexGlobalILNS_9named_dimE0ELi256ELi0EEEEEEJNSV_6LambdaILl0EJNSU_IJNS0_9LambdaArgINS0_16lambda_arg_seg_tELl0EEEEEEEEENSW_ILl1ENSX_10sequential8seq_execEJNS18_ILl1EJNSU_IJS1B_NS19_IS1A_Ll1EEEEEEEEEEEENS18_ILl2EJS1C_EEENSW_ILl2ES1F_JNS18_ILl3EJNSU_IJS1B_NS19_IS1A_Ll2EEEEEEEEEEEEEEEEEENS0_9LoopTypesINSU_IJvvvEEES1S_EEEEEEvT0_
		.amdhsa_group_segment_fixed_size 0
		.amdhsa_private_segment_fixed_size 0
		.amdhsa_kernarg_size 896
		.amdhsa_user_sgpr_count 2
		.amdhsa_user_sgpr_dispatch_ptr 0
		.amdhsa_user_sgpr_queue_ptr 0
		.amdhsa_user_sgpr_kernarg_segment_ptr 1
		.amdhsa_user_sgpr_dispatch_id 0
		.amdhsa_user_sgpr_kernarg_preload_length 0
		.amdhsa_user_sgpr_kernarg_preload_offset 0
		.amdhsa_user_sgpr_private_segment_size 0
		.amdhsa_wavefront_size32 1
		.amdhsa_uses_dynamic_stack 0
		.amdhsa_enable_private_segment 0
		.amdhsa_system_sgpr_workgroup_id_x 1
		.amdhsa_system_sgpr_workgroup_id_y 0
		.amdhsa_system_sgpr_workgroup_id_z 0
		.amdhsa_system_sgpr_workgroup_info 0
		.amdhsa_system_vgpr_workitem_id 0
		.amdhsa_next_free_vgpr 26
		.amdhsa_next_free_sgpr 38
		.amdhsa_named_barrier_count 0
		.amdhsa_reserve_vcc 1
		.amdhsa_float_round_mode_32 0
		.amdhsa_float_round_mode_16_64 0
		.amdhsa_float_denorm_mode_32 3
		.amdhsa_float_denorm_mode_16_64 3
		.amdhsa_fp16_overflow 0
		.amdhsa_memory_ordered 1
		.amdhsa_forward_progress 1
		.amdhsa_inst_pref_size 16
		.amdhsa_round_robin_scheduling 0
		.amdhsa_exception_fp_ieee_invalid_op 0
		.amdhsa_exception_fp_denorm_src 0
		.amdhsa_exception_fp_ieee_div_zero 0
		.amdhsa_exception_fp_ieee_overflow 0
		.amdhsa_exception_fp_ieee_underflow 0
		.amdhsa_exception_fp_ieee_inexact 0
		.amdhsa_exception_int_div_zero 0
	.end_amdhsa_kernel
	.section	.text._ZN4RAJA8internal22HipKernelLauncherFixedILi256ENS0_8LoopDataIN4camp5tupleIJNS_4SpanINS_9Iterators16numeric_iteratorIllPlEElEESA_NS5_INS6_24strided_numeric_iteratorIllS8_EElEEEEENS4_IJEEENS3_9resources2v13HipEJZN8rajaperf9polybench13POLYBENCH_ADI17runHipVariantImplILm256EEEvNSJ_9VariantIDEEUllE3_ZNSM_ILm256EEEvSN_EUlllE1_ZNSM_ILm256EEEvSN_EUllE4_ZNSM_ILm256EEEvSN_EUlllE2_EEENS0_24HipStatementListExecutorISS_NS3_4listIJNS_9statement3ForILl0ENS_6policy3hip11hip_indexerINS_17iteration_mapping6DirectELNS_23kernel_sync_requirementE0EJNS_3hip11IndexGlobalILNS_9named_dimE0ELi256ELi0EEEEEEJNSV_6LambdaILl0EJNSU_IJNS0_9LambdaArgINS0_16lambda_arg_seg_tELl0EEEEEEEEENSW_ILl1ENSX_10sequential8seq_execEJNS18_ILl1EJNSU_IJS1B_NS19_IS1A_Ll1EEEEEEEEEEEENS18_ILl2EJS1C_EEENSW_ILl2ES1F_JNS18_ILl3EJNSU_IJS1B_NS19_IS1A_Ll2EEEEEEEEEEEEEEEEEENS0_9LoopTypesINSU_IJvvvEEES1S_EEEEEEvT0_,"axG",@progbits,_ZN4RAJA8internal22HipKernelLauncherFixedILi256ENS0_8LoopDataIN4camp5tupleIJNS_4SpanINS_9Iterators16numeric_iteratorIllPlEElEESA_NS5_INS6_24strided_numeric_iteratorIllS8_EElEEEEENS4_IJEEENS3_9resources2v13HipEJZN8rajaperf9polybench13POLYBENCH_ADI17runHipVariantImplILm256EEEvNSJ_9VariantIDEEUllE3_ZNSM_ILm256EEEvSN_EUlllE1_ZNSM_ILm256EEEvSN_EUllE4_ZNSM_ILm256EEEvSN_EUlllE2_EEENS0_24HipStatementListExecutorISS_NS3_4listIJNS_9statement3ForILl0ENS_6policy3hip11hip_indexerINS_17iteration_mapping6DirectELNS_23kernel_sync_requirementE0EJNS_3hip11IndexGlobalILNS_9named_dimE0ELi256ELi0EEEEEEJNSV_6LambdaILl0EJNSU_IJNS0_9LambdaArgINS0_16lambda_arg_seg_tELl0EEEEEEEEENSW_ILl1ENSX_10sequential8seq_execEJNS18_ILl1EJNSU_IJS1B_NS19_IS1A_Ll1EEEEEEEEEEEENS18_ILl2EJS1C_EEENSW_ILl2ES1F_JNS18_ILl3EJNSU_IJS1B_NS19_IS1A_Ll2EEEEEEEEEEEEEEEEEENS0_9LoopTypesINSU_IJvvvEEES1S_EEEEEEvT0_,comdat
.Lfunc_end5:
	.size	_ZN4RAJA8internal22HipKernelLauncherFixedILi256ENS0_8LoopDataIN4camp5tupleIJNS_4SpanINS_9Iterators16numeric_iteratorIllPlEElEESA_NS5_INS6_24strided_numeric_iteratorIllS8_EElEEEEENS4_IJEEENS3_9resources2v13HipEJZN8rajaperf9polybench13POLYBENCH_ADI17runHipVariantImplILm256EEEvNSJ_9VariantIDEEUllE3_ZNSM_ILm256EEEvSN_EUlllE1_ZNSM_ILm256EEEvSN_EUllE4_ZNSM_ILm256EEEvSN_EUlllE2_EEENS0_24HipStatementListExecutorISS_NS3_4listIJNS_9statement3ForILl0ENS_6policy3hip11hip_indexerINS_17iteration_mapping6DirectELNS_23kernel_sync_requirementE0EJNS_3hip11IndexGlobalILNS_9named_dimE0ELi256ELi0EEEEEEJNSV_6LambdaILl0EJNSU_IJNS0_9LambdaArgINS0_16lambda_arg_seg_tELl0EEEEEEEEENSW_ILl1ENSX_10sequential8seq_execEJNS18_ILl1EJNSU_IJS1B_NS19_IS1A_Ll1EEEEEEEEEEEENS18_ILl2EJS1C_EEENSW_ILl2ES1F_JNS18_ILl3EJNSU_IJS1B_NS19_IS1A_Ll2EEEEEEEEEEEEEEEEEENS0_9LoopTypesINSU_IJvvvEEES1S_EEEEEEvT0_, .Lfunc_end5-_ZN4RAJA8internal22HipKernelLauncherFixedILi256ENS0_8LoopDataIN4camp5tupleIJNS_4SpanINS_9Iterators16numeric_iteratorIllPlEElEESA_NS5_INS6_24strided_numeric_iteratorIllS8_EElEEEEENS4_IJEEENS3_9resources2v13HipEJZN8rajaperf9polybench13POLYBENCH_ADI17runHipVariantImplILm256EEEvNSJ_9VariantIDEEUllE3_ZNSM_ILm256EEEvSN_EUlllE1_ZNSM_ILm256EEEvSN_EUllE4_ZNSM_ILm256EEEvSN_EUlllE2_EEENS0_24HipStatementListExecutorISS_NS3_4listIJNS_9statement3ForILl0ENS_6policy3hip11hip_indexerINS_17iteration_mapping6DirectELNS_23kernel_sync_requirementE0EJNS_3hip11IndexGlobalILNS_9named_dimE0ELi256ELi0EEEEEEJNSV_6LambdaILl0EJNSU_IJNS0_9LambdaArgINS0_16lambda_arg_seg_tELl0EEEEEEEEENSW_ILl1ENSX_10sequential8seq_execEJNS18_ILl1EJNSU_IJS1B_NS19_IS1A_Ll1EEEEEEEEEEEENS18_ILl2EJS1C_EEENSW_ILl2ES1F_JNS18_ILl3EJNSU_IJS1B_NS19_IS1A_Ll2EEEEEEEEEEEEEEEEEENS0_9LoopTypesINSU_IJvvvEEES1S_EEEEEEvT0_
                                        ; -- End function
	.set _ZN4RAJA8internal22HipKernelLauncherFixedILi256ENS0_8LoopDataIN4camp5tupleIJNS_4SpanINS_9Iterators16numeric_iteratorIllPlEElEESA_NS5_INS6_24strided_numeric_iteratorIllS8_EElEEEEENS4_IJEEENS3_9resources2v13HipEJZN8rajaperf9polybench13POLYBENCH_ADI17runHipVariantImplILm256EEEvNSJ_9VariantIDEEUllE3_ZNSM_ILm256EEEvSN_EUlllE1_ZNSM_ILm256EEEvSN_EUllE4_ZNSM_ILm256EEEvSN_EUlllE2_EEENS0_24HipStatementListExecutorISS_NS3_4listIJNS_9statement3ForILl0ENS_6policy3hip11hip_indexerINS_17iteration_mapping6DirectELNS_23kernel_sync_requirementE0EJNS_3hip11IndexGlobalILNS_9named_dimE0ELi256ELi0EEEEEEJNSV_6LambdaILl0EJNSU_IJNS0_9LambdaArgINS0_16lambda_arg_seg_tELl0EEEEEEEEENSW_ILl1ENSX_10sequential8seq_execEJNS18_ILl1EJNSU_IJS1B_NS19_IS1A_Ll1EEEEEEEEEEEENS18_ILl2EJS1C_EEENSW_ILl2ES1F_JNS18_ILl3EJNSU_IJS1B_NS19_IS1A_Ll2EEEEEEEEEEEEEEEEEENS0_9LoopTypesINSU_IJvvvEEES1S_EEEEEEvT0_.num_vgpr, 26
	.set _ZN4RAJA8internal22HipKernelLauncherFixedILi256ENS0_8LoopDataIN4camp5tupleIJNS_4SpanINS_9Iterators16numeric_iteratorIllPlEElEESA_NS5_INS6_24strided_numeric_iteratorIllS8_EElEEEEENS4_IJEEENS3_9resources2v13HipEJZN8rajaperf9polybench13POLYBENCH_ADI17runHipVariantImplILm256EEEvNSJ_9VariantIDEEUllE3_ZNSM_ILm256EEEvSN_EUlllE1_ZNSM_ILm256EEEvSN_EUllE4_ZNSM_ILm256EEEvSN_EUlllE2_EEENS0_24HipStatementListExecutorISS_NS3_4listIJNS_9statement3ForILl0ENS_6policy3hip11hip_indexerINS_17iteration_mapping6DirectELNS_23kernel_sync_requirementE0EJNS_3hip11IndexGlobalILNS_9named_dimE0ELi256ELi0EEEEEEJNSV_6LambdaILl0EJNSU_IJNS0_9LambdaArgINS0_16lambda_arg_seg_tELl0EEEEEEEEENSW_ILl1ENSX_10sequential8seq_execEJNS18_ILl1EJNSU_IJS1B_NS19_IS1A_Ll1EEEEEEEEEEEENS18_ILl2EJS1C_EEENSW_ILl2ES1F_JNS18_ILl3EJNSU_IJS1B_NS19_IS1A_Ll2EEEEEEEEEEEEEEEEEENS0_9LoopTypesINSU_IJvvvEEES1S_EEEEEEvT0_.num_agpr, 0
	.set _ZN4RAJA8internal22HipKernelLauncherFixedILi256ENS0_8LoopDataIN4camp5tupleIJNS_4SpanINS_9Iterators16numeric_iteratorIllPlEElEESA_NS5_INS6_24strided_numeric_iteratorIllS8_EElEEEEENS4_IJEEENS3_9resources2v13HipEJZN8rajaperf9polybench13POLYBENCH_ADI17runHipVariantImplILm256EEEvNSJ_9VariantIDEEUllE3_ZNSM_ILm256EEEvSN_EUlllE1_ZNSM_ILm256EEEvSN_EUllE4_ZNSM_ILm256EEEvSN_EUlllE2_EEENS0_24HipStatementListExecutorISS_NS3_4listIJNS_9statement3ForILl0ENS_6policy3hip11hip_indexerINS_17iteration_mapping6DirectELNS_23kernel_sync_requirementE0EJNS_3hip11IndexGlobalILNS_9named_dimE0ELi256ELi0EEEEEEJNSV_6LambdaILl0EJNSU_IJNS0_9LambdaArgINS0_16lambda_arg_seg_tELl0EEEEEEEEENSW_ILl1ENSX_10sequential8seq_execEJNS18_ILl1EJNSU_IJS1B_NS19_IS1A_Ll1EEEEEEEEEEEENS18_ILl2EJS1C_EEENSW_ILl2ES1F_JNS18_ILl3EJNSU_IJS1B_NS19_IS1A_Ll2EEEEEEEEEEEEEEEEEENS0_9LoopTypesINSU_IJvvvEEES1S_EEEEEEvT0_.numbered_sgpr, 38
	.set _ZN4RAJA8internal22HipKernelLauncherFixedILi256ENS0_8LoopDataIN4camp5tupleIJNS_4SpanINS_9Iterators16numeric_iteratorIllPlEElEESA_NS5_INS6_24strided_numeric_iteratorIllS8_EElEEEEENS4_IJEEENS3_9resources2v13HipEJZN8rajaperf9polybench13POLYBENCH_ADI17runHipVariantImplILm256EEEvNSJ_9VariantIDEEUllE3_ZNSM_ILm256EEEvSN_EUlllE1_ZNSM_ILm256EEEvSN_EUllE4_ZNSM_ILm256EEEvSN_EUlllE2_EEENS0_24HipStatementListExecutorISS_NS3_4listIJNS_9statement3ForILl0ENS_6policy3hip11hip_indexerINS_17iteration_mapping6DirectELNS_23kernel_sync_requirementE0EJNS_3hip11IndexGlobalILNS_9named_dimE0ELi256ELi0EEEEEEJNSV_6LambdaILl0EJNSU_IJNS0_9LambdaArgINS0_16lambda_arg_seg_tELl0EEEEEEEEENSW_ILl1ENSX_10sequential8seq_execEJNS18_ILl1EJNSU_IJS1B_NS19_IS1A_Ll1EEEEEEEEEEEENS18_ILl2EJS1C_EEENSW_ILl2ES1F_JNS18_ILl3EJNSU_IJS1B_NS19_IS1A_Ll2EEEEEEEEEEEEEEEEEENS0_9LoopTypesINSU_IJvvvEEES1S_EEEEEEvT0_.num_named_barrier, 0
	.set _ZN4RAJA8internal22HipKernelLauncherFixedILi256ENS0_8LoopDataIN4camp5tupleIJNS_4SpanINS_9Iterators16numeric_iteratorIllPlEElEESA_NS5_INS6_24strided_numeric_iteratorIllS8_EElEEEEENS4_IJEEENS3_9resources2v13HipEJZN8rajaperf9polybench13POLYBENCH_ADI17runHipVariantImplILm256EEEvNSJ_9VariantIDEEUllE3_ZNSM_ILm256EEEvSN_EUlllE1_ZNSM_ILm256EEEvSN_EUllE4_ZNSM_ILm256EEEvSN_EUlllE2_EEENS0_24HipStatementListExecutorISS_NS3_4listIJNS_9statement3ForILl0ENS_6policy3hip11hip_indexerINS_17iteration_mapping6DirectELNS_23kernel_sync_requirementE0EJNS_3hip11IndexGlobalILNS_9named_dimE0ELi256ELi0EEEEEEJNSV_6LambdaILl0EJNSU_IJNS0_9LambdaArgINS0_16lambda_arg_seg_tELl0EEEEEEEEENSW_ILl1ENSX_10sequential8seq_execEJNS18_ILl1EJNSU_IJS1B_NS19_IS1A_Ll1EEEEEEEEEEEENS18_ILl2EJS1C_EEENSW_ILl2ES1F_JNS18_ILl3EJNSU_IJS1B_NS19_IS1A_Ll2EEEEEEEEEEEEEEEEEENS0_9LoopTypesINSU_IJvvvEEES1S_EEEEEEvT0_.private_seg_size, 0
	.set _ZN4RAJA8internal22HipKernelLauncherFixedILi256ENS0_8LoopDataIN4camp5tupleIJNS_4SpanINS_9Iterators16numeric_iteratorIllPlEElEESA_NS5_INS6_24strided_numeric_iteratorIllS8_EElEEEEENS4_IJEEENS3_9resources2v13HipEJZN8rajaperf9polybench13POLYBENCH_ADI17runHipVariantImplILm256EEEvNSJ_9VariantIDEEUllE3_ZNSM_ILm256EEEvSN_EUlllE1_ZNSM_ILm256EEEvSN_EUllE4_ZNSM_ILm256EEEvSN_EUlllE2_EEENS0_24HipStatementListExecutorISS_NS3_4listIJNS_9statement3ForILl0ENS_6policy3hip11hip_indexerINS_17iteration_mapping6DirectELNS_23kernel_sync_requirementE0EJNS_3hip11IndexGlobalILNS_9named_dimE0ELi256ELi0EEEEEEJNSV_6LambdaILl0EJNSU_IJNS0_9LambdaArgINS0_16lambda_arg_seg_tELl0EEEEEEEEENSW_ILl1ENSX_10sequential8seq_execEJNS18_ILl1EJNSU_IJS1B_NS19_IS1A_Ll1EEEEEEEEEEEENS18_ILl2EJS1C_EEENSW_ILl2ES1F_JNS18_ILl3EJNSU_IJS1B_NS19_IS1A_Ll2EEEEEEEEEEEEEEEEEENS0_9LoopTypesINSU_IJvvvEEES1S_EEEEEEvT0_.uses_vcc, 1
	.set _ZN4RAJA8internal22HipKernelLauncherFixedILi256ENS0_8LoopDataIN4camp5tupleIJNS_4SpanINS_9Iterators16numeric_iteratorIllPlEElEESA_NS5_INS6_24strided_numeric_iteratorIllS8_EElEEEEENS4_IJEEENS3_9resources2v13HipEJZN8rajaperf9polybench13POLYBENCH_ADI17runHipVariantImplILm256EEEvNSJ_9VariantIDEEUllE3_ZNSM_ILm256EEEvSN_EUlllE1_ZNSM_ILm256EEEvSN_EUllE4_ZNSM_ILm256EEEvSN_EUlllE2_EEENS0_24HipStatementListExecutorISS_NS3_4listIJNS_9statement3ForILl0ENS_6policy3hip11hip_indexerINS_17iteration_mapping6DirectELNS_23kernel_sync_requirementE0EJNS_3hip11IndexGlobalILNS_9named_dimE0ELi256ELi0EEEEEEJNSV_6LambdaILl0EJNSU_IJNS0_9LambdaArgINS0_16lambda_arg_seg_tELl0EEEEEEEEENSW_ILl1ENSX_10sequential8seq_execEJNS18_ILl1EJNSU_IJS1B_NS19_IS1A_Ll1EEEEEEEEEEEENS18_ILl2EJS1C_EEENSW_ILl2ES1F_JNS18_ILl3EJNSU_IJS1B_NS19_IS1A_Ll2EEEEEEEEEEEEEEEEEENS0_9LoopTypesINSU_IJvvvEEES1S_EEEEEEvT0_.uses_flat_scratch, 0
	.set _ZN4RAJA8internal22HipKernelLauncherFixedILi256ENS0_8LoopDataIN4camp5tupleIJNS_4SpanINS_9Iterators16numeric_iteratorIllPlEElEESA_NS5_INS6_24strided_numeric_iteratorIllS8_EElEEEEENS4_IJEEENS3_9resources2v13HipEJZN8rajaperf9polybench13POLYBENCH_ADI17runHipVariantImplILm256EEEvNSJ_9VariantIDEEUllE3_ZNSM_ILm256EEEvSN_EUlllE1_ZNSM_ILm256EEEvSN_EUllE4_ZNSM_ILm256EEEvSN_EUlllE2_EEENS0_24HipStatementListExecutorISS_NS3_4listIJNS_9statement3ForILl0ENS_6policy3hip11hip_indexerINS_17iteration_mapping6DirectELNS_23kernel_sync_requirementE0EJNS_3hip11IndexGlobalILNS_9named_dimE0ELi256ELi0EEEEEEJNSV_6LambdaILl0EJNSU_IJNS0_9LambdaArgINS0_16lambda_arg_seg_tELl0EEEEEEEEENSW_ILl1ENSX_10sequential8seq_execEJNS18_ILl1EJNSU_IJS1B_NS19_IS1A_Ll1EEEEEEEEEEEENS18_ILl2EJS1C_EEENSW_ILl2ES1F_JNS18_ILl3EJNSU_IJS1B_NS19_IS1A_Ll2EEEEEEEEEEEEEEEEEENS0_9LoopTypesINSU_IJvvvEEES1S_EEEEEEvT0_.has_dyn_sized_stack, 0
	.set _ZN4RAJA8internal22HipKernelLauncherFixedILi256ENS0_8LoopDataIN4camp5tupleIJNS_4SpanINS_9Iterators16numeric_iteratorIllPlEElEESA_NS5_INS6_24strided_numeric_iteratorIllS8_EElEEEEENS4_IJEEENS3_9resources2v13HipEJZN8rajaperf9polybench13POLYBENCH_ADI17runHipVariantImplILm256EEEvNSJ_9VariantIDEEUllE3_ZNSM_ILm256EEEvSN_EUlllE1_ZNSM_ILm256EEEvSN_EUllE4_ZNSM_ILm256EEEvSN_EUlllE2_EEENS0_24HipStatementListExecutorISS_NS3_4listIJNS_9statement3ForILl0ENS_6policy3hip11hip_indexerINS_17iteration_mapping6DirectELNS_23kernel_sync_requirementE0EJNS_3hip11IndexGlobalILNS_9named_dimE0ELi256ELi0EEEEEEJNSV_6LambdaILl0EJNSU_IJNS0_9LambdaArgINS0_16lambda_arg_seg_tELl0EEEEEEEEENSW_ILl1ENSX_10sequential8seq_execEJNS18_ILl1EJNSU_IJS1B_NS19_IS1A_Ll1EEEEEEEEEEEENS18_ILl2EJS1C_EEENSW_ILl2ES1F_JNS18_ILl3EJNSU_IJS1B_NS19_IS1A_Ll2EEEEEEEEEEEEEEEEEENS0_9LoopTypesINSU_IJvvvEEES1S_EEEEEEvT0_.has_recursion, 0
	.set _ZN4RAJA8internal22HipKernelLauncherFixedILi256ENS0_8LoopDataIN4camp5tupleIJNS_4SpanINS_9Iterators16numeric_iteratorIllPlEElEESA_NS5_INS6_24strided_numeric_iteratorIllS8_EElEEEEENS4_IJEEENS3_9resources2v13HipEJZN8rajaperf9polybench13POLYBENCH_ADI17runHipVariantImplILm256EEEvNSJ_9VariantIDEEUllE3_ZNSM_ILm256EEEvSN_EUlllE1_ZNSM_ILm256EEEvSN_EUllE4_ZNSM_ILm256EEEvSN_EUlllE2_EEENS0_24HipStatementListExecutorISS_NS3_4listIJNS_9statement3ForILl0ENS_6policy3hip11hip_indexerINS_17iteration_mapping6DirectELNS_23kernel_sync_requirementE0EJNS_3hip11IndexGlobalILNS_9named_dimE0ELi256ELi0EEEEEEJNSV_6LambdaILl0EJNSU_IJNS0_9LambdaArgINS0_16lambda_arg_seg_tELl0EEEEEEEEENSW_ILl1ENSX_10sequential8seq_execEJNS18_ILl1EJNSU_IJS1B_NS19_IS1A_Ll1EEEEEEEEEEEENS18_ILl2EJS1C_EEENSW_ILl2ES1F_JNS18_ILl3EJNSU_IJS1B_NS19_IS1A_Ll2EEEEEEEEEEEEEEEEEENS0_9LoopTypesINSU_IJvvvEEES1S_EEEEEEvT0_.has_indirect_call, 0
	.section	.AMDGPU.csdata,"",@progbits
; Kernel info:
; codeLenInByte = 1940
; TotalNumSgprs: 40
; NumVgprs: 26
; ScratchSize: 0
; MemoryBound: 1
; FloatMode: 240
; IeeeMode: 1
; LDSByteSize: 0 bytes/workgroup (compile time only)
; SGPRBlocks: 0
; VGPRBlocks: 1
; NumSGPRsForWavesPerEU: 40
; NumVGPRsForWavesPerEU: 26
; NamedBarCnt: 0
; Occupancy: 16
; WaveLimiterHint : 0
; COMPUTE_PGM_RSRC2:SCRATCH_EN: 0
; COMPUTE_PGM_RSRC2:USER_SGPR: 2
; COMPUTE_PGM_RSRC2:TRAP_HANDLER: 0
; COMPUTE_PGM_RSRC2:TGID_X_EN: 1
; COMPUTE_PGM_RSRC2:TGID_Y_EN: 0
; COMPUTE_PGM_RSRC2:TGID_Z_EN: 0
; COMPUTE_PGM_RSRC2:TIDIG_COMP_CNT: 0
	.section	.AMDGPU.gpr_maximums,"",@progbits
	.set amdgpu.max_num_vgpr, 0
	.set amdgpu.max_num_agpr, 0
	.set amdgpu.max_num_sgpr, 0
	.section	.AMDGPU.csdata,"",@progbits
	.type	__hip_cuid_b552f06ce3069d,@object ; @__hip_cuid_b552f06ce3069d
	.section	.bss,"aw",@nobits
	.globl	__hip_cuid_b552f06ce3069d
__hip_cuid_b552f06ce3069d:
	.byte	0                               ; 0x0
	.size	__hip_cuid_b552f06ce3069d, 1

	.ident	"AMD clang version 22.0.0git (https://github.com/RadeonOpenCompute/llvm-project roc-7.2.4 26084 f58b06dce1f9c15707c5f808fd002e18c2accf7e)"
	.section	".note.GNU-stack","",@progbits
	.addrsig
	.addrsig_sym __hip_cuid_b552f06ce3069d
	.amdgpu_metadata
---
amdhsa.kernels:
  - .args:
      - .offset:         0
        .size:           8
        .value_kind:     by_value
      - .offset:         8
        .size:           8
        .value_kind:     by_value
      - .offset:         16
        .size:           8
        .value_kind:     by_value
      - .offset:         24
        .size:           8
        .value_kind:     by_value
      - .offset:         32
        .size:           8
        .value_kind:     by_value
      - .offset:         40
        .size:           8
        .value_kind:     by_value
      - .address_space:  global
        .offset:         48
        .size:           8
        .value_kind:     global_buffer
      - .address_space:  global
        .offset:         56
        .size:           8
        .value_kind:     global_buffer
      - .address_space:  global
        .offset:         64
        .size:           8
        .value_kind:     global_buffer
      - .address_space:  global
        .offset:         72
        .size:           8
        .value_kind:     global_buffer
    .group_segment_fixed_size: 0
    .kernarg_segment_align: 8
    .kernarg_segment_size: 80
    .language:       OpenCL C
    .language_version:
      - 2
      - 0
    .max_flat_workgroup_size: 256
    .name:           _ZN8rajaperf9polybench9poly_adi1ILm256EEEvldddddPdS2_S2_S2_
    .private_segment_fixed_size: 0
    .sgpr_count:     47
    .sgpr_spill_count: 0
    .symbol:         _ZN8rajaperf9polybench9poly_adi1ILm256EEEvldddddPdS2_S2_S2_.kd
    .uniform_work_group_size: 1
    .uses_dynamic_stack: false
    .vgpr_count:     28
    .vgpr_spill_count: 0
    .wavefront_size: 32
  - .args:
      - .offset:         0
        .size:           8
        .value_kind:     by_value
      - .offset:         8
        .size:           8
        .value_kind:     by_value
      - .offset:         16
        .size:           8
        .value_kind:     by_value
      - .offset:         24
        .size:           8
        .value_kind:     by_value
      - .offset:         32
        .size:           8
        .value_kind:     by_value
      - .offset:         40
        .size:           8
        .value_kind:     by_value
      - .address_space:  global
        .offset:         48
        .size:           8
        .value_kind:     global_buffer
      - .address_space:  global
        .offset:         56
        .size:           8
        .value_kind:     global_buffer
      - .address_space:  global
        .offset:         64
        .size:           8
        .value_kind:     global_buffer
      - .address_space:  global
        .offset:         72
        .size:           8
        .value_kind:     global_buffer
    .group_segment_fixed_size: 0
    .kernarg_segment_align: 8
    .kernarg_segment_size: 80
    .language:       OpenCL C
    .language_version:
      - 2
      - 0
    .max_flat_workgroup_size: 256
    .name:           _ZN8rajaperf9polybench9poly_adi2ILm256EEEvldddddPdS2_S2_S2_
    .private_segment_fixed_size: 0
    .sgpr_count:     38
    .sgpr_spill_count: 0
    .symbol:         _ZN8rajaperf9polybench9poly_adi2ILm256EEEvldddddPdS2_S2_S2_.kd
    .uniform_work_group_size: 1
    .uses_dynamic_stack: false
    .vgpr_count:     32
    .vgpr_spill_count: 0
    .wavefront_size: 32
  - .args:
      - .offset:         0
        .size:           8
        .value_kind:     by_value
      - .offset:         8
        .size:           80
        .value_kind:     by_value
    .group_segment_fixed_size: 0
    .kernarg_segment_align: 8
    .kernarg_segment_size: 88
    .language:       OpenCL C
    .language_version:
      - 2
      - 0
    .max_flat_workgroup_size: 256
    .name:           _ZN8rajaperf9polybench12poly_adi_lamILm256EZNS0_13POLYBENCH_ADI17runHipVariantImplILm256EEEvNS_9VariantIDEEUllE_EEvlT0_
    .private_segment_fixed_size: 0
    .sgpr_count:     51
    .sgpr_spill_count: 0
    .symbol:         _ZN8rajaperf9polybench12poly_adi_lamILm256EZNS0_13POLYBENCH_ADI17runHipVariantImplILm256EEEvNS_9VariantIDEEUllE_EEvlT0_.kd
    .uniform_work_group_size: 1
    .uses_dynamic_stack: false
    .vgpr_count:     32
    .vgpr_spill_count: 0
    .wavefront_size: 32
  - .args:
      - .offset:         0
        .size:           8
        .value_kind:     by_value
      - .offset:         8
        .size:           80
        .value_kind:     by_value
    .group_segment_fixed_size: 0
    .kernarg_segment_align: 8
    .kernarg_segment_size: 88
    .language:       OpenCL C
    .language_version:
      - 2
      - 0
    .max_flat_workgroup_size: 256
    .name:           _ZN8rajaperf9polybench12poly_adi_lamILm256EZNS0_13POLYBENCH_ADI17runHipVariantImplILm256EEEvNS_9VariantIDEEUllE0_EEvlT0_
    .private_segment_fixed_size: 0
    .sgpr_count:     38
    .sgpr_spill_count: 0
    .symbol:         _ZN8rajaperf9polybench12poly_adi_lamILm256EZNS0_13POLYBENCH_ADI17runHipVariantImplILm256EEEvNS_9VariantIDEEUllE0_EEvlT0_.kd
    .uniform_work_group_size: 1
    .uses_dynamic_stack: false
    .vgpr_count:     36
    .vgpr_spill_count: 0
    .wavefront_size: 32
  - .args:
      - .offset:         0
        .size:           896
        .value_kind:     by_value
    .group_segment_fixed_size: 0
    .kernarg_segment_align: 8
    .kernarg_segment_size: 896
    .language:       OpenCL C
    .language_version:
      - 2
      - 0
    .max_flat_workgroup_size: 256
    .name:           _ZN4RAJA8internal22HipKernelLauncherFixedILi256ENS0_8LoopDataIN4camp5tupleIJNS_4SpanINS_9Iterators16numeric_iteratorIllPlEElEESA_NS5_INS6_24strided_numeric_iteratorIllS8_EElEEEEENS4_IJEEENS3_9resources2v13HipEJZN8rajaperf9polybench13POLYBENCH_ADI17runHipVariantImplILm256EEEvNSJ_9VariantIDEEUllE1_ZNSM_ILm256EEEvSN_EUlllE_ZNSM_ILm256EEEvSN_EUllE2_ZNSM_ILm256EEEvSN_EUlllE0_EEENS0_24HipStatementListExecutorISS_NS3_4listIJNS_9statement3ForILl0ENS_6policy3hip11hip_indexerINS_17iteration_mapping6DirectELNS_23kernel_sync_requirementE0EJNS_3hip11IndexGlobalILNS_9named_dimE0ELi256ELi0EEEEEEJNSV_6LambdaILl0EJNSU_IJNS0_9LambdaArgINS0_16lambda_arg_seg_tELl0EEEEEEEEENSW_ILl1ENSX_10sequential8seq_execEJNS18_ILl1EJNSU_IJS1B_NS19_IS1A_Ll1EEEEEEEEEEEENS18_ILl2EJS1C_EEENSW_ILl2ES1F_JNS18_ILl3EJNSU_IJS1B_NS19_IS1A_Ll2EEEEEEEEEEEEEEEEEENS0_9LoopTypesINSU_IJvvvEEES1S_EEEEEEvT0_
    .private_segment_fixed_size: 0
    .sgpr_count:     44
    .sgpr_spill_count: 0
    .symbol:         _ZN4RAJA8internal22HipKernelLauncherFixedILi256ENS0_8LoopDataIN4camp5tupleIJNS_4SpanINS_9Iterators16numeric_iteratorIllPlEElEESA_NS5_INS6_24strided_numeric_iteratorIllS8_EElEEEEENS4_IJEEENS3_9resources2v13HipEJZN8rajaperf9polybench13POLYBENCH_ADI17runHipVariantImplILm256EEEvNSJ_9VariantIDEEUllE1_ZNSM_ILm256EEEvSN_EUlllE_ZNSM_ILm256EEEvSN_EUllE2_ZNSM_ILm256EEEvSN_EUlllE0_EEENS0_24HipStatementListExecutorISS_NS3_4listIJNS_9statement3ForILl0ENS_6policy3hip11hip_indexerINS_17iteration_mapping6DirectELNS_23kernel_sync_requirementE0EJNS_3hip11IndexGlobalILNS_9named_dimE0ELi256ELi0EEEEEEJNSV_6LambdaILl0EJNSU_IJNS0_9LambdaArgINS0_16lambda_arg_seg_tELl0EEEEEEEEENSW_ILl1ENSX_10sequential8seq_execEJNS18_ILl1EJNSU_IJS1B_NS19_IS1A_Ll1EEEEEEEEEEEENS18_ILl2EJS1C_EEENSW_ILl2ES1F_JNS18_ILl3EJNSU_IJS1B_NS19_IS1A_Ll2EEEEEEEEEEEEEEEEEENS0_9LoopTypesINSU_IJvvvEEES1S_EEEEEEvT0_.kd
    .uniform_work_group_size: 1
    .uses_dynamic_stack: false
    .vgpr_count:     24
    .vgpr_spill_count: 0
    .wavefront_size: 32
  - .args:
      - .offset:         0
        .size:           896
        .value_kind:     by_value
    .group_segment_fixed_size: 0
    .kernarg_segment_align: 8
    .kernarg_segment_size: 896
    .language:       OpenCL C
    .language_version:
      - 2
      - 0
    .max_flat_workgroup_size: 256
    .name:           _ZN4RAJA8internal22HipKernelLauncherFixedILi256ENS0_8LoopDataIN4camp5tupleIJNS_4SpanINS_9Iterators16numeric_iteratorIllPlEElEESA_NS5_INS6_24strided_numeric_iteratorIllS8_EElEEEEENS4_IJEEENS3_9resources2v13HipEJZN8rajaperf9polybench13POLYBENCH_ADI17runHipVariantImplILm256EEEvNSJ_9VariantIDEEUllE3_ZNSM_ILm256EEEvSN_EUlllE1_ZNSM_ILm256EEEvSN_EUllE4_ZNSM_ILm256EEEvSN_EUlllE2_EEENS0_24HipStatementListExecutorISS_NS3_4listIJNS_9statement3ForILl0ENS_6policy3hip11hip_indexerINS_17iteration_mapping6DirectELNS_23kernel_sync_requirementE0EJNS_3hip11IndexGlobalILNS_9named_dimE0ELi256ELi0EEEEEEJNSV_6LambdaILl0EJNSU_IJNS0_9LambdaArgINS0_16lambda_arg_seg_tELl0EEEEEEEEENSW_ILl1ENSX_10sequential8seq_execEJNS18_ILl1EJNSU_IJS1B_NS19_IS1A_Ll1EEEEEEEEEEEENS18_ILl2EJS1C_EEENSW_ILl2ES1F_JNS18_ILl3EJNSU_IJS1B_NS19_IS1A_Ll2EEEEEEEEEEEEEEEEEENS0_9LoopTypesINSU_IJvvvEEES1S_EEEEEEvT0_
    .private_segment_fixed_size: 0
    .sgpr_count:     40
    .sgpr_spill_count: 0
    .symbol:         _ZN4RAJA8internal22HipKernelLauncherFixedILi256ENS0_8LoopDataIN4camp5tupleIJNS_4SpanINS_9Iterators16numeric_iteratorIllPlEElEESA_NS5_INS6_24strided_numeric_iteratorIllS8_EElEEEEENS4_IJEEENS3_9resources2v13HipEJZN8rajaperf9polybench13POLYBENCH_ADI17runHipVariantImplILm256EEEvNSJ_9VariantIDEEUllE3_ZNSM_ILm256EEEvSN_EUlllE1_ZNSM_ILm256EEEvSN_EUllE4_ZNSM_ILm256EEEvSN_EUlllE2_EEENS0_24HipStatementListExecutorISS_NS3_4listIJNS_9statement3ForILl0ENS_6policy3hip11hip_indexerINS_17iteration_mapping6DirectELNS_23kernel_sync_requirementE0EJNS_3hip11IndexGlobalILNS_9named_dimE0ELi256ELi0EEEEEEJNSV_6LambdaILl0EJNSU_IJNS0_9LambdaArgINS0_16lambda_arg_seg_tELl0EEEEEEEEENSW_ILl1ENSX_10sequential8seq_execEJNS18_ILl1EJNSU_IJS1B_NS19_IS1A_Ll1EEEEEEEEEEEENS18_ILl2EJS1C_EEENSW_ILl2ES1F_JNS18_ILl3EJNSU_IJS1B_NS19_IS1A_Ll2EEEEEEEEEEEEEEEEEENS0_9LoopTypesINSU_IJvvvEEES1S_EEEEEEvT0_.kd
    .uniform_work_group_size: 1
    .uses_dynamic_stack: false
    .vgpr_count:     26
    .vgpr_spill_count: 0
    .wavefront_size: 32
amdhsa.target:   amdgcn-amd-amdhsa--gfx1250
amdhsa.version:
  - 1
  - 2
...

	.end_amdgpu_metadata
